;; amdgpu-corpus repo=ROCm/rccl kind=compiled arch=gfx1250 opt=O3
	.amdgcn_target "amdgcn-amd-amdhsa--gfx1250"
	.amdhsa_code_object_version 6
	.text
	.p2align	2                               ; -- Begin function _ZN12_GLOBAL__N_17runRingI14__hip_fp8_e5m28FuncProdIS1_E7ProtoLLLi0ELi1ELi0EEEviiP15ncclDevWorkColl
	.type	_ZN12_GLOBAL__N_17runRingI14__hip_fp8_e5m28FuncProdIS1_E7ProtoLLLi0ELi1ELi0EEEviiP15ncclDevWorkColl,@function
_ZN12_GLOBAL__N_17runRingI14__hip_fp8_e5m28FuncProdIS1_E7ProtoLLLi0ELi1ELi0EEEviiP15ncclDevWorkColl: ; @_ZN12_GLOBAL__N_17runRingI14__hip_fp8_e5m28FuncProdIS1_E7ProtoLLLi0ELi1ELi0EEEviiP15ncclDevWorkColl
; %bb.0:
	s_wait_loadcnt_dscnt 0x0
	s_wait_kmcnt 0x0
	s_clause 0x17
	scratch_store_b32 off, v40, s32 offset:92
	; meta instruction
	scratch_store_b32 off, v41, s32 offset:88
	; meta instruction
	;; [unrolled: 2-line block ×23, first 2 shown]
	scratch_store_b32 off, v79, s32
	s_trap 2
	s_clause 0x2
	flat_load_b32 v12, v[2:3]
	flat_load_b128 v[4:7], v[2:3] offset:72
	flat_load_b64 v[68:69], v[2:3] offset:88
	v_mov_b32_e32 v20, v1
	ds_load_b32 v8, v0
	ds_load_b64 v[22:23], v0
	s_mov_b32 s0, exec_lo
                                        ; implicit-def: $vgpr54_vgpr55
                                        ; implicit-def: $vgpr24_vgpr25
	s_wait_dscnt 0x1
	v_readfirstlane_b32 s10, v8
	s_wait_loadcnt 0x2
	v_bfe_u32 v9, v12, 8, 8
	v_bitop3_b32 v1, v12, 0xff, v12 bitop3:0x3f
	s_delay_alu instid0(VALU_DEP_1) | instskip(NEXT) | instid1(VALU_DEP_1)
	v_add_nc_u32_e32 v10, v9, v1
	v_ashrrev_i32_e32 v11, 31, v10
	s_wait_loadcnt 0x1
	s_delay_alu instid0(VALU_DEP_1) | instskip(SKIP_2) | instid1(VALU_DEP_1)
	v_mul_u64_e32 v[18:19], v[6:7], v[10:11]
	v_and_b32_e32 v10, 0xff, v12
	s_wait_xcnt 0x0
	v_cmpx_ne_u32_e64 v8, v10
	s_xor_b32 s0, exec_lo, s0
	s_cbranch_execz .LBB0_6
; %bb.1:
	s_mov_b32 s1, exec_lo
                                        ; implicit-def: $vgpr54_vgpr55
                                        ; implicit-def: $vgpr24_vgpr25
	v_cmpx_ne_u32_e64 v8, v9
	s_xor_b32 s1, exec_lo, s1
	s_cbranch_execz .LBB0_3
; %bb.2:
	flat_load_b64 v[10:11], v[2:3] offset:96
	v_add_nc_u32_e32 v1, v8, v1
	s_delay_alu instid0(VALU_DEP_1) | instskip(NEXT) | instid1(VALU_DEP_1)
	v_mad_nc_u64_u32 v[24:25], v6, v1, v[4:5]
	v_mad_u32 v8, v7, v1, v25
	v_ashrrev_i32_e32 v1, 31, v1
	s_delay_alu instid0(VALU_DEP_1)
	v_mad_u32 v25, v6, v1, v8
	s_wait_loadcnt_dscnt 0x0
	v_lshrrev_b64 v[54:55], 17, v[10:11]
.LBB0_3:
	s_wait_xcnt 0x0
	s_and_not1_saveexec_b32 s1, s1
	s_cbranch_execz .LBB0_5
; %bb.4:
	flat_load_b32 v1, v[2:3] offset:100
	v_add_nc_u64_e32 v[24:25], v[18:19], v[4:5]
	s_wait_loadcnt 0x1
	v_mov_b64_e32 v[6:7], v[68:69]
	s_wait_loadcnt_dscnt 0x0
	v_lshrrev_b32_e32 v54, 6, v1
.LBB0_5:
	s_wait_xcnt 0x0
	s_or_b32 exec_lo, exec_lo, s1
.LBB0_6:
	s_and_not1_saveexec_b32 s0, s0
	s_cbranch_execz .LBB0_8
; %bb.7:
	flat_load_b64 v[6:7], v[2:3] offset:96
	v_mov_b64_e32 v[24:25], 0
	s_wait_loadcnt_dscnt 0x0
	v_lshlrev_b64_e32 v[54:55], 4, v[6:7]
	v_mov_b64_e32 v[6:7], v[4:5]
.LBB0_8:
	s_wait_xcnt 0x0
	s_or_b32 exec_lo, exec_lo, s0
	s_load_b32 s0, s[8:9], 0x0
	s_clause 0x1
	flat_load_u16 v13, v[2:3] offset:8
	flat_load_b32 v12, v[2:3] offset:4
	s_bfe_u32 s1, ttmp6, 0x4000c
	s_and_b32 s2, ttmp6, 15
	s_add_co_i32 s1, s1, 1
	s_getreg_b32 s3, hwreg(HW_REG_IB_STS2, 6, 4)
	s_mul_i32 s1, ttmp9, s1
	v_mov_b32_e32 v1, 0
	s_add_co_i32 s2, s2, s1
	s_cmp_eq_u32 s3, 0
	s_mov_b32 s1, 0
	s_cselect_b32 s2, ttmp9, s2
	v_mov_b64_e32 v[26:27], 0
	s_wait_kmcnt 0x0
	s_cmp_lt_u32 s2, s0
	s_cselect_b32 s0, 12, 18
	s_delay_alu instid0(SALU_CYCLE_1)
	s_add_nc_u64 s[2:3], s[8:9], s[0:1]
	flat_load_b128 v[8:11], v[2:3] offset:16
	global_load_u16 v21, v1, s[2:3]
	s_wait_xcnt 0x0
	v_ashrrev_i32_e32 v1, 31, v0
	s_trap 2
	ds_load_b32 v2, v0
	v_lshrrev_b32_e32 v3, 27, v1
	s_delay_alu instid0(VALU_DEP_1) | instskip(NEXT) | instid1(VALU_DEP_1)
	v_add_nc_u32_e32 v3, v0, v3
	v_and_b32_e32 v3, 0xffffffe0, v3
	s_wait_dscnt 0x0
	v_cmp_gt_i32_e32 vcc_lo, 0, v2
	v_readfirstlane_b32 s2, v2
	s_and_b32 vcc_lo, exec_lo, vcc_lo
	s_wait_loadcnt 0x2
	v_lshrrev_b64 v[14:15], 31, v[12:13]
	v_sub_nc_u32_e32 v12, v0, v3
	s_delay_alu instid0(VALU_DEP_1) | instskip(NEXT) | instid1(VALU_DEP_3)
	v_cmp_eq_u32_e64 s0, 0, v12
	v_and_b32_e32 v3, 3, v14
	s_delay_alu instid0(VALU_DEP_1)
	v_and_b32_e32 v13, 0xffff, v3
	s_cbranch_vccnz .LBB0_10
; %bb.9:
	s_trap 2
	ds_load_b64 v[14:15], v0
	s_mov_b32 s1, 1
	s_wait_dscnt 0x0
	v_readfirstlane_b32 s4, v14
	v_readfirstlane_b32 s5, v15
	flat_load_b64 v[2:3], v2, s[4:5] scale_offset
	s_wait_loadcnt_dscnt 0x0
	v_mad_nc_u64_u32 v[2:3], 0xa8, v13, v[2:3]
	s_clause 0x1
	flat_load_b64 v[32:33], v[2:3] offset:504
	flat_load_b64 v[34:35], v[2:3] offset:608
	v_add_nc_u64_e32 v[28:29], 0x1f8, v[2:3]
	s_wait_xcnt 0x0
	s_delay_alu instid0(VALU_DEP_1)
	v_dual_cndmask_b32 v3, 0, v29, s0 :: v_dual_cndmask_b32 v2, 0, v28, s0
	s_branch .LBB0_11
.LBB0_10:
	v_mov_b64_e32 v[28:29], 0
	v_mov_b64_e32 v[2:3], 0
                                        ; implicit-def: $vgpr34_vgpr35
                                        ; implicit-def: $vgpr32_vgpr33
.LBB0_11:
	s_trap 2
	ds_load_b32 v14, v0
	s_wait_dscnt 0x0
	v_cmp_gt_i32_e32 vcc_lo, 0, v14
	s_cbranch_vccnz .LBB0_13
; %bb.12:
	s_trap 2
	ds_load_b64 v[16:17], v0
	v_cmp_eq_u32_e32 vcc_lo, 0, v12
	s_wait_dscnt 0x0
	v_readfirstlane_b32 s4, v16
	v_readfirstlane_b32 s5, v17
	flat_load_b64 v[14:15], v14, s[4:5] scale_offset
	s_wait_loadcnt_dscnt 0x0
	v_mad_nc_u64_u32 v[26:27], 0xa8, v13, v[14:15]
	s_clause 0x1
	flat_load_b64 v[36:37], v[26:27]
	flat_load_b64 v[16:17], v[26:27] offset:104
	v_dual_cndmask_b32 v53, 0, v27 :: v_dual_cndmask_b32 v52, 0, v26
	s_branch .LBB0_14
.LBB0_13:
	v_mov_b64_e32 v[52:53], 0
                                        ; implicit-def: $vgpr16_vgpr17
                                        ; implicit-def: $vgpr36_vgpr37
.LBB0_14:
	s_wait_xcnt 0x2
	v_subrev_nc_u32_e32 v14, 32, v20
	v_cmp_gt_i32_e32 vcc_lo, s1, v12
	v_mov_b64_e32 v[12:13], 0
	v_mov_b64_e32 v[48:49], 0
                                        ; implicit-def: $vgpr38_vgpr39
	s_delay_alu instid0(VALU_DEP_4)
	v_cmp_ge_i32_e64 s0, v0, v14
	s_and_b32 s9, s0, vcc_lo
	s_wait_xcnt 0x0
	s_and_saveexec_b32 s0, s9
	s_cbranch_execz .LBB0_16
; %bb.15:
	s_clause 0x1
	flat_load_b64 v[48:49], v[2:3] offset:56
	flat_load_b64 v[38:39], v[2:3] offset:104
.LBB0_16:
	s_wait_xcnt 0x0
	s_or_b32 exec_lo, exec_lo, s0
	v_mov_b64_e32 v[50:51], 0
	v_cmp_gt_i32_e64 s0, s1, v0
                                        ; implicit-def: $vgpr64_vgpr65
	s_and_saveexec_b32 s1, s0
	s_cbranch_execz .LBB0_18
; %bb.17:
	flat_load_b64 v[50:51], v[52:53] offset:56
	s_wait_loadcnt_dscnt 0x0
	flat_load_b64 v[64:65], v[50:51] scope:SCOPE_SYS
	s_wait_loadcnt 0x0
	flat_load_b128 v[12:15], v[52:53] offset:96
.LBB0_18:
	s_wait_xcnt 0x0
	s_or_b32 exec_lo, exec_lo, s1
	v_mov_b64_e32 v[52:53], 0
	s_wait_loadcnt 0x0
	v_and_b32_e32 v56, 0xffff, v21
	s_mov_b32 s14, exec_lo
	v_cmpx_ne_u64_e32 0, v[6:7]
	s_cbranch_execnz .LBB0_34
; %bb.19:
	s_or_b32 exec_lo, exec_lo, s14
	s_and_saveexec_b32 s1, s9
	s_cbranch_execnz .LBB0_864
.LBB0_20:
	s_or_b32 exec_lo, exec_lo, s1
	s_and_saveexec_b32 s1, s0
	s_cbranch_execz .LBB0_22
.LBB0_21:
	s_wait_dscnt 0x0
	flat_store_b64 v[26:27], v[14:15] offset:104
.LBB0_22:
	s_wait_xcnt 0x0
	s_or_b32 exec_lo, exec_lo, s1
	s_delay_alu instid0(SALU_CYCLE_1)
	s_mov_b32 s0, exec_lo
	v_cmpx_ne_u32_e32 32, v20
	s_cbranch_execz .LBB0_871
; %bb.23:
	s_mov_b32 s1, exec_lo
	v_cmpx_ne_u32_e64 v20, v56
	s_xor_b32 s1, exec_lo, s1
	s_cbranch_execz .LBB0_869
; %bb.24:
	v_and_b32_e32 v0, 31, v31
	s_mov_b32 s2, exec_lo
	s_delay_alu instid0(VALU_DEP_1)
	v_cmpx_eq_u32_e32 0, v0
	s_cbranch_execz .LBB0_868
; %bb.25:
	s_mov_b32 s4, exec_lo
	s_mov_b32 s3, exec_lo
	v_mbcnt_lo_u32_b32 v0, s4, 0
	global_wb scope:SCOPE_DEV
	s_wait_storecnt 0x0
	s_wait_loadcnt_dscnt 0x0
	global_inv scope:SCOPE_DEV
	v_cmpx_eq_u32_e32 0, v0
	s_cbranch_execz .LBB0_27
; %bb.26:
	s_bcnt1_i32_b32 s4, s4
	s_delay_alu instid0(SALU_CYCLE_1)
	v_dual_mov_b32 v1, 0 :: v_dual_mov_b32 v0, s4
	s_wait_loadcnt 0x0
	ds_add_u64 v0, v[0:1]
	s_trap 2
.LBB0_27:
	s_or_b32 exec_lo, exec_lo, s3
	s_trap 2
	ds_load_b64 v[2:3], v0
	s_wait_dscnt 0x0
	v_dual_mov_b32 v1, 0 :: v_dual_lshrrev_b32 v0, 5, v20
	s_mov_b32 s3, exec_lo
	s_delay_alu instid0(VALU_DEP_1) | instskip(NEXT) | instid1(VALU_DEP_1)
	v_add_nc_u64_e32 v[0:1], v[52:53], v[0:1]
	v_cmpx_lt_u64_e64 v[2:3], v[0:1]
	s_cbranch_execz .LBB0_867
; %bb.28:
	s_mov_b32 s4, 0
	s_mov_b32 s7, 0
                                        ; implicit-def: $sgpr5
                                        ; implicit-def: $sgpr6
	s_branch .LBB0_30
.LBB0_29:                               ;   in Loop: Header=BB0_30 Depth=1
	s_or_b32 exec_lo, exec_lo, s9
	s_delay_alu instid0(SALU_CYCLE_1) | instskip(NEXT) | instid1(SALU_CYCLE_1)
	s_and_b32 s8, exec_lo, s10
	s_or_b32 s4, s8, s4
	s_and_not1_b32 s5, s5, exec_lo
	s_and_b32 s8, s6, exec_lo
	s_delay_alu instid0(SALU_CYCLE_1)
	s_or_b32 s5, s5, s8
	s_and_not1_b32 exec_lo, exec_lo, s4
	s_cbranch_execz .LBB0_865
.LBB0_30:                               ; =>This Inner Loop Header: Depth=1
	s_add_co_i32 s7, s7, 1
	s_delay_alu instid0(SALU_CYCLE_1) | instskip(SKIP_1) | instid1(SALU_CYCLE_1)
	s_cmp_lg_u32 s7, 0x2710
	s_cselect_b32 s8, -1, 0
	s_and_b32 vcc_lo, exec_lo, s8
	s_cbranch_vccz .LBB0_32
; %bb.31:                               ;   in Loop: Header=BB0_30 Depth=1
	s_mov_b32 s10, -1
	s_or_b32 s6, s6, exec_lo
	s_and_saveexec_b32 s9, s8
	s_cbranch_execz .LBB0_29
	s_branch .LBB0_33
.LBB0_32:                               ;   in Loop: Header=BB0_30 Depth=1
	s_trap 2
	ds_load_b64 v[2:3], v0
	s_and_not1_b32 s8, s8, exec_lo
	s_mov_b32 s7, 0
	s_wait_loadcnt_dscnt 0x0
	flat_load_b32 v2, v[2:3] scope:SCOPE_SYS
	s_wait_loadcnt_dscnt 0x0
	global_inv scope:SCOPE_SYS
	v_cmp_eq_u32_e32 vcc_lo, 0, v2
	s_and_b32 s9, vcc_lo, exec_lo
	s_delay_alu instid0(SALU_CYCLE_1)
	s_or_b32 s8, s8, s9
	s_mov_b32 s10, -1
	s_or_b32 s6, s6, exec_lo
	s_and_saveexec_b32 s9, s8
	s_cbranch_execz .LBB0_29
.LBB0_33:                               ;   in Loop: Header=BB0_30 Depth=1
	s_sleep 1
	s_trap 2
	ds_load_b64 v[2:3], v0
	s_wait_dscnt 0x0
	s_and_not1_b32 s6, s6, exec_lo
	v_cmp_ge_u64_e32 vcc_lo, v[2:3], v[0:1]
	s_or_not1_b32 s10, vcc_lo, exec_lo
	s_branch .LBB0_29
.LBB0_34:
	v_add_nc_u64_e32 v[2:3], v[68:69], v[4:5]
	v_mov_b32_e32 v55, 0
	s_ashr_i32 s1, s2, 31
	s_ashr_i32 s11, s10, 31
	s_lshr_b32 s1, s1, 29
	v_mov_b64_e32 v[80:81], 0
	s_add_co_i32 s2, s2, s1
	v_add_nc_u64_e32 v[68:69], v[2:3], v[18:19]
	v_dual_mov_b32 v67, v55 :: v_dual_bitop2_b32 v2, 31, v31 bitop3:0x40
	v_lshlrev_b32_e32 v82, 3, v0
	v_dual_mov_b32 v87, v55 :: v_dual_lshrrev_b32 v84, 5, v20
	v_mov_b32_e32 v21, v55
	s_delay_alu instid0(VALU_DEP_4)
	v_cmp_eq_u32_e64 s5, 0, v2
	v_add_nc_u64_e32 v[2:3], v[24:25], v[10:11]
	v_ashrrev_i32_e32 v83, 31, v82
	s_ashr_i32 s4, s2, 3
	s_ashr_i32 s15, s2, 7
	s_lshl_b64 s[2:3], s[10:11], 2
	v_cmp_ne_u64_e64 s1, 0, v[50:51]
	v_add_nc_u64_e32 v[70:71], s[2:3], v[22:23]
	s_wait_dscnt 0x0
	v_cmp_ne_u64_e64 s2, 0, v[12:13]
	v_add_nc_u64_e32 v[96:97], v[10:11], v[82:83]
	v_cmp_ne_u64_e64 s6, 0, v[48:49]
	v_add_nc_u64_e32 v[8:9], v[8:9], v[82:83]
	v_add_nc_u64_e32 v[98:99], v[2:3], v[82:83]
	v_lshlrev_b64_e32 v[102:103], 4, v[20:21]
	v_mov_b64_e32 v[52:53], 0
	v_and_b32_e32 v66, 0x1fffff0, v54
	s_and_b32 s11, s4, -16
	v_cmp_ne_u32_e64 s3, 32, v20
	v_cmp_ne_u32_e64 s4, v20, v56
	v_dual_mov_b32 v85, v55 :: v_dual_lshlrev_b32 v86, 3, v20
	v_lshlrev_b32_e32 v57, 6, v20
	v_lshl_add_u64 v[100:101], v[0:1], 4, v[36:37]
	v_mov_b32_e32 v1, 1
	v_mov_b32_e32 v21, 0x7f800000
	v_dual_mov_b32 v58, 0x7c :: v_dual_mov_b32 v59, 0
	s_cmp_gt_i32 s10, 2
	s_mov_b64 s[12:13], 0xffffffffffffff
	s_mov_b32 s16, 0
	s_cselect_b32 s17, -1, 0
	s_branch .LBB0_36
.LBB0_35:                               ;   in Loop: Header=BB0_36 Depth=1
	s_wait_xcnt 0x0
	s_or_b32 exec_lo, exec_lo, s7
	v_add_nc_u64_e32 v[80:81], v[80:81], v[66:67]
	v_add_nc_u64_e32 v[34:35], 1, v[34:35]
	v_add_nc_u64_e32 v[98:99], v[98:99], v[66:67]
	s_delay_alu instid0(VALU_DEP_3) | instskip(SKIP_1) | instid1(SALU_CYCLE_1)
	v_cmp_ge_u64_e32 vcc_lo, v[80:81], v[6:7]
	s_or_b32 s16, vcc_lo, s16
	s_and_not1_b32 exec_lo, exec_lo, s16
	s_cbranch_execz .LBB0_863
.LBB0_36:                               ; =>This Loop Header: Depth=1
                                        ;     Child Loop BB0_41 Depth 2
                                        ;     Child Loop BB0_60 Depth 2
                                        ;     Child Loop BB0_74 Depth 2
                                        ;     Child Loop BB0_81 Depth 2
                                        ;     Child Loop BB0_85 Depth 2
                                        ;       Child Loop BB0_90 Depth 3
                                        ;       Child Loop BB0_109 Depth 3
	;; [unrolled: 1-line block ×3, first 2 shown]
                                        ;         Child Loop BB0_138 Depth 4
                                        ;       Child Loop BB0_473 Depth 3
                                        ;       Child Loop BB0_126 Depth 3
                                        ;     Child Loop BB0_489 Depth 2
                                        ;       Child Loop BB0_497 Depth 3
                                        ;     Child Loop BB0_851 Depth 2
	s_wait_loadcnt_dscnt 0x0
	flat_load_b32 v19, v[70:71] offset:-4
	v_sub_nc_u64_e32 v[2:3], v[6:7], v[80:81]
	s_delay_alu instid0(VALU_DEP_1) | instskip(NEXT) | instid1(VALU_DEP_1)
	v_min_u64 v[2:3], v[66:67], v[2:3]
	v_lshl_add_u32 v3, v2, 1, 14
	s_delay_alu instid0(VALU_DEP_1)
	v_and_b32_e32 v30, 0x7fffff0, v3
	s_wait_xcnt 0x0
	s_and_saveexec_b32 s8, s1
	s_cbranch_execz .LBB0_52
; %bb.37:                               ;   in Loop: Header=BB0_36 Depth=1
	v_add_nc_u64_e32 v[4:5], 1, v[14:15]
	v_add_nc_u64_e32 v[112:113], 8, v[64:65]
	s_mov_b32 s18, exec_lo
	s_delay_alu instid0(VALU_DEP_1)
	v_cmpx_lt_u64_e64 v[112:113], v[4:5]
	s_cbranch_execz .LBB0_49
; %bb.38:                               ;   in Loop: Header=BB0_36 Depth=1
	s_mov_b32 s19, 0
	s_mov_b32 s23, 0
	v_cmp_eq_u32_e32 vcc_lo, 0, v59
                                        ; implicit-def: $sgpr20
                                        ; implicit-def: $sgpr21
                                        ; implicit-def: $sgpr22
	s_branch .LBB0_41
.LBB0_39:                               ;   in Loop: Header=BB0_41 Depth=2
	s_or_b32 exec_lo, exec_lo, s28
	v_mov_b32_e32 v15, 0
	s_and_not1_b32 s7, s22, exec_lo
	s_and_b32 s22, s26, exec_lo
	s_and_not1_b32 s21, s21, exec_lo
	s_and_b32 s25, s25, exec_lo
	s_or_b32 s22, s7, s22
	s_or_b32 s21, s21, s25
.LBB0_40:                               ;   in Loop: Header=BB0_41 Depth=2
	s_or_b32 exec_lo, exec_lo, s24
	s_delay_alu instid0(SALU_CYCLE_1) | instskip(NEXT) | instid1(SALU_CYCLE_1)
	s_and_b32 s7, exec_lo, s21
	s_or_b32 s19, s7, s19
	s_and_not1_b32 s7, s20, exec_lo
	s_and_b32 s20, s22, exec_lo
	s_delay_alu instid0(SALU_CYCLE_1)
	s_or_b32 s20, s7, s20
	s_and_not1_b32 exec_lo, exec_lo, s19
	s_cbranch_execz .LBB0_46
.LBB0_41:                               ;   Parent Loop BB0_36 Depth=1
                                        ; =>  This Inner Loop Header: Depth=2
	s_sleep 1
	s_wait_loadcnt_dscnt 0x0
	flat_load_b64 v[64:65], v[50:51] scope:SCOPE_DEV
	v_mov_b32_e32 v15, v59
	s_or_b32 s22, s22, exec_lo
	s_or_b32 s21, s21, exec_lo
                                        ; implicit-def: $vgpr3
	s_wait_xcnt 0x0
	s_and_saveexec_b32 s24, vcc_lo
	s_cbranch_execz .LBB0_40
; %bb.42:                               ;   in Loop: Header=BB0_41 Depth=2
	s_add_co_i32 s23, s23, 1
	s_mov_b32 s25, -1
	s_cmp_lg_u32 s23, 0x2710
	s_mov_b32 s26, -1
	s_cselect_b32 s27, -1, 0
	s_cmp_eq_u32 s23, 0x2710
                                        ; implicit-def: $vgpr3
	s_cbranch_scc1 .LBB0_44
; %bb.43:                               ;   in Loop: Header=BB0_41 Depth=2
	s_and_saveexec_b32 s28, s27
	s_cbranch_execz .LBB0_39
	s_branch .LBB0_45
.LBB0_44:                               ;   in Loop: Header=BB0_41 Depth=2
	s_trap 2
	ds_load_b64 v[112:113], v0
	s_and_not1_b32 s23, s27, exec_lo
	s_mov_b32 s26, 0
	s_wait_storecnt 0x0
	s_wait_loadcnt_dscnt 0x0
	flat_load_b32 v3, v[112:113] scope:SCOPE_SYS
	s_wait_loadcnt_dscnt 0x0
	global_inv scope:SCOPE_SYS
	v_cmp_eq_u32_e64 s7, 0, v3
	s_and_b32 s7, s7, exec_lo
	s_delay_alu instid0(SALU_CYCLE_1)
	s_or_b32 s27, s23, s7
	s_mov_b32 s23, 0
	s_and_saveexec_b32 s28, s27
	s_cbranch_execz .LBB0_39
.LBB0_45:                               ;   in Loop: Header=BB0_41 Depth=2
	s_wait_loadcnt_dscnt 0x0
	v_add_nc_u64_e32 v[112:113], 8, v[64:65]
	s_or_b32 s26, s26, exec_lo
	s_delay_alu instid0(VALU_DEP_1)
	v_cmp_ge_u64_e64 s7, v[112:113], v[4:5]
	s_or_not1_b32 s25, s7, exec_lo
	s_branch .LBB0_39
.LBB0_46:                               ;   in Loop: Header=BB0_36 Depth=1
	s_or_b32 exec_lo, exec_lo, s19
	s_xor_b32 s7, s20, -1
	s_delay_alu instid0(SALU_CYCLE_1) | instskip(NEXT) | instid1(SALU_CYCLE_1)
	s_and_saveexec_b32 s19, s7
	s_xor_b32 s7, exec_lo, s19
	s_cbranch_execz .LBB0_48
; %bb.47:                               ;   in Loop: Header=BB0_36 Depth=1
	v_mov_b32_e32 v15, 1
	s_wait_storecnt 0x0
	s_wait_loadcnt_dscnt 0x0
	ds_store_b32 v0, v3
	s_trap 2
.LBB0_48:                               ;   in Loop: Header=BB0_36 Depth=1
	s_or_b32 exec_lo, exec_lo, s7
	v_mov_b32_e32 v59, v15
.LBB0_49:                               ;   in Loop: Header=BB0_36 Depth=1
	s_or_b32 exec_lo, exec_lo, s18
	s_and_saveexec_b32 s7, s2
	s_cbranch_execz .LBB0_51
; %bb.50:                               ;   in Loop: Header=BB0_36 Depth=1
	v_and_b32_e32 v54, 0x7ffffff8, v14
	s_delay_alu instid0(VALU_DEP_1) | instskip(SKIP_1) | instid1(VALU_DEP_1)
	v_cmp_eq_u64_e32 vcc_lo, 0x7ffffff8, v[54:55]
	v_cndmask_b32_e64 v112, v30, s11, vcc_lo
	v_dual_ashrrev_i32 v113, 31, v112 :: v_dual_bitop2_b32 v3, 7, v14 bitop3:0x40
	s_delay_alu instid0(VALU_DEP_1)
	v_mad_nc_u64_u32 v[14:15], v3, 24, v[12:13]
	flat_store_b64 v[14:15], v[112:113] offset:8 scope:SCOPE_SYS
	s_wait_storecnt 0x0
.LBB0_51:                               ;   in Loop: Header=BB0_36 Depth=1
	s_wait_xcnt 0x0
	s_or_b32 exec_lo, exec_lo, s7
	v_mov_b64_e32 v[14:15], v[4:5]
.LBB0_52:                               ;   in Loop: Header=BB0_36 Depth=1
	s_or_b32 exec_lo, exec_lo, s8
	s_and_saveexec_b32 s7, s3
	s_cbranch_execz .LBB0_71
; %bb.53:                               ;   in Loop: Header=BB0_36 Depth=1
	s_and_saveexec_b32 s8, s4
	s_delay_alu instid0(SALU_CYCLE_1)
	s_xor_b32 s8, exec_lo, s8
	s_cbranch_execz .LBB0_68
; %bb.54:                               ;   in Loop: Header=BB0_36 Depth=1
	s_and_saveexec_b32 s18, s5
	s_cbranch_execz .LBB0_67
; %bb.55:                               ;   in Loop: Header=BB0_36 Depth=1
	s_mov_b32 s20, exec_lo
	s_mov_b32 s19, exec_lo
	v_mbcnt_lo_u32_b32 v3, s20, 0
	global_wb scope:SCOPE_DEV
	s_wait_storecnt 0x0
	s_wait_loadcnt_dscnt 0x0
	global_inv scope:SCOPE_DEV
	v_cmpx_eq_u32_e32 0, v3
	s_cbranch_execz .LBB0_57
; %bb.56:                               ;   in Loop: Header=BB0_36 Depth=1
	s_bcnt1_i32_b32 s20, s20
	s_delay_alu instid0(SALU_CYCLE_1)
	v_mov_b32_e32 v54, s20
	s_wait_loadcnt 0x0
	ds_add_u64 v0, v[54:55]
	s_trap 2
.LBB0_57:                               ;   in Loop: Header=BB0_36 Depth=1
	s_or_b32 exec_lo, exec_lo, s19
	s_trap 2
	ds_load_b64 v[4:5], v0
	s_wait_dscnt 0x0
	v_add_nc_u64_e32 v[52:53], v[52:53], v[84:85]
	s_mov_b32 s19, exec_lo
	s_delay_alu instid0(VALU_DEP_1)
	v_cmpx_lt_u64_e64 v[4:5], v[52:53]
	s_cbranch_execz .LBB0_66
; %bb.58:                               ;   in Loop: Header=BB0_36 Depth=1
	s_mov_b32 s20, 0
	s_mov_b32 s23, 0
                                        ; implicit-def: $sgpr21
                                        ; implicit-def: $sgpr22
	s_branch .LBB0_60
.LBB0_59:                               ;   in Loop: Header=BB0_60 Depth=2
	s_or_b32 exec_lo, exec_lo, s25
	s_delay_alu instid0(SALU_CYCLE_1) | instskip(NEXT) | instid1(SALU_CYCLE_1)
	s_and_b32 s24, exec_lo, s26
	s_or_b32 s20, s24, s20
	s_and_not1_b32 s21, s21, exec_lo
	s_and_b32 s24, s22, exec_lo
	s_delay_alu instid0(SALU_CYCLE_1)
	s_or_b32 s21, s21, s24
	s_and_not1_b32 exec_lo, exec_lo, s20
	s_cbranch_execz .LBB0_64
.LBB0_60:                               ;   Parent Loop BB0_36 Depth=1
                                        ; =>  This Inner Loop Header: Depth=2
	s_add_co_i32 s23, s23, 1
	s_delay_alu instid0(SALU_CYCLE_1) | instskip(SKIP_1) | instid1(SALU_CYCLE_1)
	s_cmp_lg_u32 s23, 0x2710
	s_cselect_b32 s24, -1, 0
	s_and_b32 vcc_lo, exec_lo, s24
	s_cbranch_vccz .LBB0_62
; %bb.61:                               ;   in Loop: Header=BB0_60 Depth=2
	s_mov_b32 s26, -1
	s_or_b32 s22, s22, exec_lo
	s_and_saveexec_b32 s25, s24
	s_cbranch_execz .LBB0_59
	s_branch .LBB0_63
.LBB0_62:                               ;   in Loop: Header=BB0_60 Depth=2
	s_trap 2
	ds_load_b64 v[4:5], v0
	s_and_not1_b32 s24, s24, exec_lo
	s_mov_b32 s23, 0
	s_wait_loadcnt_dscnt 0x0
	flat_load_b32 v3, v[4:5] scope:SCOPE_SYS
	s_wait_loadcnt_dscnt 0x0
	global_inv scope:SCOPE_SYS
	v_cmp_eq_u32_e32 vcc_lo, 0, v3
	s_and_b32 s25, vcc_lo, exec_lo
	s_delay_alu instid0(SALU_CYCLE_1)
	s_or_b32 s24, s24, s25
	s_mov_b32 s26, -1
	s_or_b32 s22, s22, exec_lo
	s_and_saveexec_b32 s25, s24
	s_cbranch_execz .LBB0_59
.LBB0_63:                               ;   in Loop: Header=BB0_60 Depth=2
	s_sleep 1
	s_trap 2
	ds_load_b64 v[4:5], v0
	s_wait_dscnt 0x0
	s_and_not1_b32 s22, s22, exec_lo
	v_cmp_ge_u64_e32 vcc_lo, v[4:5], v[52:53]
	s_or_not1_b32 s26, vcc_lo, exec_lo
	s_branch .LBB0_59
.LBB0_64:                               ;   in Loop: Header=BB0_36 Depth=1
	s_or_b32 exec_lo, exec_lo, s20
	s_and_saveexec_b32 s20, s21
	s_delay_alu instid0(SALU_CYCLE_1)
	s_xor_b32 s20, exec_lo, s20
	s_cbranch_execz .LBB0_66
; %bb.65:                               ;   in Loop: Header=BB0_36 Depth=1
	ds_store_b32 v0, v1
	s_trap 2
.LBB0_66:                               ;   in Loop: Header=BB0_36 Depth=1
	s_or_b32 exec_lo, exec_lo, s19
	;;#ASMSTART
	s_wakeup
	;;#ASMEND
.LBB0_67:                               ;   in Loop: Header=BB0_36 Depth=1
	s_or_b32 exec_lo, exec_lo, s18
.LBB0_68:                               ;   in Loop: Header=BB0_36 Depth=1
	s_and_not1_saveexec_b32 s8, s8
	s_cbranch_execz .LBB0_70
; %bb.69:                               ;   in Loop: Header=BB0_36 Depth=1
	global_wb scope:SCOPE_DEV
	s_wait_storecnt 0x0
	s_wait_loadcnt_dscnt 0x0
	global_inv scope:SCOPE_DEV
	s_barrier_signal -1
	s_barrier_wait -1
.LBB0_70:                               ;   in Loop: Header=BB0_36 Depth=1
	s_or_b32 exec_lo, exec_lo, s8
.LBB0_71:                               ;   in Loop: Header=BB0_36 Depth=1
	s_delay_alu instid0(SALU_CYCLE_1) | instskip(SKIP_2) | instid1(VALU_DEP_2)
	s_or_b32 exec_lo, exec_lo, s7
	v_dual_sub_nc_u32 v60, v2, v82 :: v_dual_bitop2_b32 v116, 7, v16 bitop3:0x40
	v_dual_mov_b32 v18, v0 :: v_dual_add_nc_u32 v3, 1, v16
	v_cmp_lt_i32_e64 s7, 0, v60
	s_and_saveexec_b32 s8, s7
	s_cbranch_execz .LBB0_79
; %bb.72:                               ;   in Loop: Header=BB0_36 Depth=1
	s_wait_loadcnt_dscnt 0x0
	v_mad_nc_u64_u32 v[112:113], v68, v19, v[98:99]
	v_mul_lo_u32 v4, v116, s15
	v_mul_lo_u32 v18, v68, v19
	v_mov_b32_e32 v117, v60
	s_mov_b32 s18, 0
	s_delay_alu instid0(VALU_DEP_4) | instskip(NEXT) | instid1(VALU_DEP_4)
	v_mad_u32 v2, v69, v19, v113
	v_dual_ashrrev_i32 v19, 31, v19 :: v_dual_ashrrev_i32 v5, 31, v4
	s_delay_alu instid0(VALU_DEP_1) | instskip(NEXT) | instid1(VALU_DEP_2)
	v_lshl_add_u64 v[114:115], v[4:5], 4, v[100:101]
	v_mad_u32 v113, v68, v19, v2
	v_add_lshl_u32 v19, v98, v18, 3
	v_mov_b32_e32 v18, v0
	s_branch .LBB0_74
.LBB0_73:                               ;   in Loop: Header=BB0_74 Depth=2
	s_wait_xcnt 0x0
	s_or_b32 exec_lo, exec_lo, s19
	s_wait_loadcnt 0x0
	v_alignbit_b32 v2, v119, v2, v19
	v_alignbit_b32 v4, v118, v119, v19
	v_dual_mov_b32 v5, v3 :: v_dual_sub_nc_u32 v117, v117, v86
	v_add_nc_u64_e32 v[112:113], v[112:113], v[86:87]
	v_dual_add_nc_u32 v18, v18, v20 :: v_dual_add_nc_u32 v19, v19, v57
	global_store_b128 v[114:115], v[2:5], off
	v_cmp_gt_i32_e32 vcc_lo, 1, v117
	s_wait_xcnt 0x0
	v_add_nc_u64_e32 v[114:115], v[114:115], v[102:103]
	s_or_b32 s18, vcc_lo, s18
	s_delay_alu instid0(SALU_CYCLE_1)
	s_and_not1_b32 exec_lo, exec_lo, s18
	s_cbranch_execz .LBB0_78
.LBB0_74:                               ;   Parent Loop BB0_36 Depth=1
                                        ; =>  This Inner Loop Header: Depth=2
	s_delay_alu instid0(VALU_DEP_3)
	v_dual_mov_b32 v5, v113 :: v_dual_bitop2_b32 v4, -4, v112 bitop3:0x40
	v_min_u32_e32 v54, 8, v117
	v_dual_mov_b32 v119, 0 :: v_dual_bitop2_b32 v118, 3, v112 bitop3:0x40
	s_mov_b32 s19, exec_lo
	global_load_b32 v2, v[4:5], off th:TH_LOAD_NT
	v_dual_add_nc_u32 v54, v118, v54 :: v_dual_mov_b32 v118, 0
	s_wait_xcnt 0x0
	s_delay_alu instid0(VALU_DEP_1)
	v_cmpx_lt_u32_e32 4, v54
	s_cbranch_execz .LBB0_76
; %bb.75:                               ;   in Loop: Header=BB0_74 Depth=2
	global_load_b32 v119, v[4:5], off offset:4 th:TH_LOAD_NT
.LBB0_76:                               ;   in Loop: Header=BB0_74 Depth=2
	s_wait_xcnt 0x0
	s_or_b32 exec_lo, exec_lo, s19
	s_delay_alu instid0(SALU_CYCLE_1)
	s_mov_b32 s19, exec_lo
	v_cmpx_lt_u64_e32 8, v[54:55]
	s_cbranch_execz .LBB0_73
; %bb.77:                               ;   in Loop: Header=BB0_74 Depth=2
	global_load_b32 v118, v[4:5], off offset:8 th:TH_LOAD_NT
	s_branch .LBB0_73
.LBB0_78:                               ;   in Loop: Header=BB0_36 Depth=1
	s_or_b32 exec_lo, exec_lo, s18
.LBB0_79:                               ;   in Loop: Header=BB0_36 Depth=1
	s_delay_alu instid0(SALU_CYCLE_1) | instskip(SKIP_2) | instid1(VALU_DEP_2)
	s_or_b32 exec_lo, exec_lo, s8
	v_and_b32_e32 v54, 0x7ffffff8, v16
	v_cmp_gt_i32_e64 s8, s15, v18
	v_cmp_eq_u64_e32 vcc_lo, 0x7ffffff8, v[54:55]
	s_and_b32 s18, vcc_lo, s8
	s_delay_alu instid0(SALU_CYCLE_1)
	s_and_saveexec_b32 s8, s18
	s_cbranch_execz .LBB0_82
; %bb.80:                               ;   in Loop: Header=BB0_36 Depth=1
	v_mul_lo_u32 v4, v116, s15
	v_mov_b32_e32 v2, v55
	s_mov_b32 s18, 0
	s_wait_loadcnt_dscnt 0x0
	s_delay_alu instid0(VALU_DEP_2) | instskip(NEXT) | instid1(VALU_DEP_1)
	v_dual_ashrrev_i32 v19, 31, v18 :: v_dual_ashrrev_i32 v5, 31, v4
	v_lshlrev_b64_e32 v[4:5], 4, v[4:5]
	s_delay_alu instid0(VALU_DEP_1) | instskip(NEXT) | instid1(VALU_DEP_1)
	v_lshl_add_u64 v[4:5], v[18:19], 4, v[4:5]
	v_add_nc_u64_e32 v[112:113], v[36:37], v[4:5]
.LBB0_81:                               ;   Parent Loop BB0_36 Depth=1
                                        ; =>  This Inner Loop Header: Depth=2
	v_dual_mov_b32 v4, v2 :: v_dual_mov_b32 v5, v3
	v_add_nc_u32_e32 v18, v18, v20
	global_store_b128 v[112:113], v[2:5], off
	v_cmp_le_i32_e32 vcc_lo, s15, v18
	s_wait_xcnt 0x0
	v_add_nc_u64_e32 v[112:113], v[112:113], v[102:103]
	s_or_b32 s18, vcc_lo, s18
	s_delay_alu instid0(SALU_CYCLE_1)
	s_and_not1_b32 exec_lo, exec_lo, s18
	s_cbranch_execnz .LBB0_81
.LBB0_82:                               ;   in Loop: Header=BB0_36 Depth=1
	s_or_b32 exec_lo, exec_lo, s8
	v_add_nc_u64_e32 v[112:113], v[80:81], v[24:25]
	v_add_nc_u64_e32 v[114:115], 1, v[16:17]
	s_and_not1_b32 vcc_lo, exec_lo, s17
	s_cbranch_vccnz .LBB0_484
; %bb.83:                               ;   in Loop: Header=BB0_36 Depth=1
	s_delay_alu instid0(VALU_DEP_2)
	v_add_nc_u64_e32 v[116:117], v[96:97], v[112:113]
	v_add_nc_u16 v61, v16, 1
	s_mov_b32 s18, 2
	s_branch .LBB0_85
.LBB0_84:                               ;   in Loop: Header=BB0_85 Depth=2
	s_or_b32 exec_lo, exec_lo, s8
	v_add_nc_u64_e32 v[34:35], 1, v[34:35]
	v_add_nc_u64_e32 v[114:115], 1, v[114:115]
	v_add_nc_u16 v61, v61, 1
	s_add_co_i32 s18, s18, 1
	s_delay_alu instid0(SALU_CYCLE_1)
	s_cmp_eq_u32 s18, s10
	s_cbranch_scc1 .LBB0_484
.LBB0_85:                               ;   Parent Loop BB0_36 Depth=1
                                        ; =>  This Loop Header: Depth=2
                                        ;       Child Loop BB0_90 Depth 3
                                        ;       Child Loop BB0_109 Depth 3
	;; [unrolled: 1-line block ×3, first 2 shown]
                                        ;         Child Loop BB0_138 Depth 4
                                        ;       Child Loop BB0_473 Depth 3
                                        ;       Child Loop BB0_126 Depth 3
	s_sub_co_i32 s8, s10, s18
	v_readfirstlane_b32 s20, v22
	v_mov_b32_e32 v2, s8
	v_readfirstlane_b32 s21, v23
	s_wait_loadcnt_dscnt 0x0
	flat_load_b32 v4, v2, s[20:21] scale_offset
	s_wait_xcnt 0x0
	s_and_saveexec_b32 s19, s1
	s_cbranch_execz .LBB0_101
; %bb.86:                               ;   in Loop: Header=BB0_85 Depth=2
	v_add_nc_u64_e32 v[2:3], 1, v[14:15]
	s_wait_loadcnt_dscnt 0x101
	v_add_nc_u64_e32 v[16:17], 8, v[64:65]
	s_mov_b32 s20, exec_lo
	s_delay_alu instid0(VALU_DEP_1)
	v_cmpx_lt_u64_e64 v[16:17], v[2:3]
	s_cbranch_execz .LBB0_98
; %bb.87:                               ;   in Loop: Header=BB0_85 Depth=2
	s_mov_b32 s21, 0
	s_mov_b32 s25, 0
	v_cmp_eq_u32_e32 vcc_lo, 0, v59
                                        ; implicit-def: $sgpr22
                                        ; implicit-def: $sgpr23
                                        ; implicit-def: $sgpr24
	s_branch .LBB0_90
.LBB0_88:                               ;   in Loop: Header=BB0_90 Depth=3
	s_or_b32 exec_lo, exec_lo, s40
	v_mov_b32_e32 v15, 0
	s_and_not1_b32 s8, s24, exec_lo
	s_and_b32 s24, s28, exec_lo
	s_and_not1_b32 s23, s23, exec_lo
	s_and_b32 s27, s27, exec_lo
	s_or_b32 s24, s8, s24
	s_or_b32 s23, s23, s27
.LBB0_89:                               ;   in Loop: Header=BB0_90 Depth=3
	s_or_b32 exec_lo, exec_lo, s26
	s_delay_alu instid0(SALU_CYCLE_1) | instskip(NEXT) | instid1(SALU_CYCLE_1)
	s_and_b32 s8, exec_lo, s23
	s_or_b32 s21, s8, s21
	s_and_not1_b32 s8, s22, exec_lo
	s_and_b32 s22, s24, exec_lo
	s_delay_alu instid0(SALU_CYCLE_1)
	s_or_b32 s22, s8, s22
	s_and_not1_b32 exec_lo, exec_lo, s21
	s_cbranch_execz .LBB0_95
.LBB0_90:                               ;   Parent Loop BB0_36 Depth=1
                                        ;     Parent Loop BB0_85 Depth=2
                                        ; =>    This Inner Loop Header: Depth=3
	s_sleep 1
	s_wait_loadcnt_dscnt 0x0
	flat_load_b64 v[64:65], v[50:51] scope:SCOPE_DEV
	v_mov_b32_e32 v15, v59
	s_or_b32 s24, s24, exec_lo
	s_or_b32 s23, s23, exec_lo
                                        ; implicit-def: $vgpr5
	s_wait_xcnt 0x0
	s_and_saveexec_b32 s26, vcc_lo
	s_cbranch_execz .LBB0_89
; %bb.91:                               ;   in Loop: Header=BB0_90 Depth=3
	s_add_co_i32 s25, s25, 1
	s_mov_b32 s27, -1
	s_cmp_lg_u32 s25, 0x2710
	s_mov_b32 s28, -1
	s_cselect_b32 s29, -1, 0
	s_cmp_eq_u32 s25, 0x2710
                                        ; implicit-def: $vgpr5
	s_cbranch_scc1 .LBB0_93
; %bb.92:                               ;   in Loop: Header=BB0_90 Depth=3
	s_and_saveexec_b32 s40, s29
	s_cbranch_execz .LBB0_88
	s_branch .LBB0_94
.LBB0_93:                               ;   in Loop: Header=BB0_90 Depth=3
	s_trap 2
	ds_load_b64 v[16:17], v0
	s_and_not1_b32 s25, s29, exec_lo
	s_mov_b32 s28, 0
	s_wait_storecnt 0x0
	s_wait_loadcnt_dscnt 0x0
	flat_load_b32 v5, v[16:17] scope:SCOPE_SYS
	s_wait_loadcnt_dscnt 0x0
	global_inv scope:SCOPE_SYS
	v_cmp_eq_u32_e64 s8, 0, v5
	s_and_b32 s8, s8, exec_lo
	s_delay_alu instid0(SALU_CYCLE_1)
	s_or_b32 s29, s25, s8
	s_mov_b32 s25, 0
	s_and_saveexec_b32 s40, s29
	s_cbranch_execz .LBB0_88
.LBB0_94:                               ;   in Loop: Header=BB0_90 Depth=3
	s_wait_loadcnt_dscnt 0x0
	v_add_nc_u64_e32 v[16:17], 8, v[64:65]
	s_or_b32 s28, s28, exec_lo
	s_delay_alu instid0(VALU_DEP_1)
	v_cmp_ge_u64_e64 s8, v[16:17], v[2:3]
	s_or_not1_b32 s27, s8, exec_lo
	s_branch .LBB0_88
.LBB0_95:                               ;   in Loop: Header=BB0_85 Depth=2
	s_or_b32 exec_lo, exec_lo, s21
	s_xor_b32 s8, s22, -1
	s_delay_alu instid0(SALU_CYCLE_1) | instskip(NEXT) | instid1(SALU_CYCLE_1)
	s_and_saveexec_b32 s21, s8
	s_xor_b32 s8, exec_lo, s21
	s_cbranch_execz .LBB0_97
; %bb.96:                               ;   in Loop: Header=BB0_85 Depth=2
	v_mov_b32_e32 v15, 1
	s_wait_storecnt 0x0
	s_wait_loadcnt_dscnt 0x0
	ds_store_b32 v0, v5
	s_trap 2
.LBB0_97:                               ;   in Loop: Header=BB0_85 Depth=2
	s_or_b32 exec_lo, exec_lo, s8
	v_mov_b32_e32 v59, v15
.LBB0_98:                               ;   in Loop: Header=BB0_85 Depth=2
	s_or_b32 exec_lo, exec_lo, s20
	s_and_saveexec_b32 s8, s2
	s_cbranch_execz .LBB0_100
; %bb.99:                               ;   in Loop: Header=BB0_85 Depth=2
	v_and_b32_e32 v54, 0x7ffffff8, v14
	s_delay_alu instid0(VALU_DEP_1) | instskip(SKIP_1) | instid1(VALU_DEP_1)
	v_cmp_eq_u64_e32 vcc_lo, 0x7ffffff8, v[54:55]
	v_cndmask_b32_e64 v16, v30, s11, vcc_lo
	v_dual_ashrrev_i32 v17, 31, v16 :: v_dual_bitop2_b32 v5, 7, v14 bitop3:0x40
	s_delay_alu instid0(VALU_DEP_1)
	v_mad_nc_u64_u32 v[14:15], v5, 24, v[12:13]
	flat_store_b64 v[14:15], v[16:17] offset:8 scope:SCOPE_SYS
	s_wait_storecnt 0x0
.LBB0_100:                              ;   in Loop: Header=BB0_85 Depth=2
	s_wait_xcnt 0x0
	s_or_b32 exec_lo, exec_lo, s8
	v_mov_b64_e32 v[14:15], v[2:3]
.LBB0_101:                              ;   in Loop: Header=BB0_85 Depth=2
	s_or_b32 exec_lo, exec_lo, s19
	s_and_saveexec_b32 s8, s3
	s_cbranch_execz .LBB0_120
; %bb.102:                              ;   in Loop: Header=BB0_85 Depth=2
	s_and_saveexec_b32 s19, s4
	s_delay_alu instid0(SALU_CYCLE_1)
	s_xor_b32 s19, exec_lo, s19
	s_cbranch_execz .LBB0_117
; %bb.103:                              ;   in Loop: Header=BB0_85 Depth=2
	s_and_saveexec_b32 s20, s5
	s_cbranch_execz .LBB0_116
; %bb.104:                              ;   in Loop: Header=BB0_85 Depth=2
	s_mov_b32 s22, exec_lo
	s_mov_b32 s21, exec_lo
	v_mbcnt_lo_u32_b32 v2, s22, 0
	global_wb scope:SCOPE_DEV
	s_wait_storecnt 0x0
	s_wait_loadcnt_dscnt 0x0
	global_inv scope:SCOPE_DEV
	v_cmpx_eq_u32_e32 0, v2
	s_cbranch_execz .LBB0_106
; %bb.105:                              ;   in Loop: Header=BB0_85 Depth=2
	s_bcnt1_i32_b32 s22, s22
	s_delay_alu instid0(SALU_CYCLE_1)
	v_mov_b32_e32 v54, s22
	s_wait_loadcnt 0x0
	ds_add_u64 v0, v[54:55]
	s_trap 2
.LBB0_106:                              ;   in Loop: Header=BB0_85 Depth=2
	s_or_b32 exec_lo, exec_lo, s21
	s_trap 2
	ds_load_b64 v[2:3], v0
	s_wait_dscnt 0x0
	v_add_nc_u64_e32 v[52:53], v[52:53], v[84:85]
	s_mov_b32 s21, exec_lo
	s_delay_alu instid0(VALU_DEP_1)
	v_cmpx_lt_u64_e64 v[2:3], v[52:53]
	s_cbranch_execz .LBB0_115
; %bb.107:                              ;   in Loop: Header=BB0_85 Depth=2
	s_mov_b32 s22, 0
	s_mov_b32 s25, 0
                                        ; implicit-def: $sgpr23
                                        ; implicit-def: $sgpr24
	s_branch .LBB0_109
.LBB0_108:                              ;   in Loop: Header=BB0_109 Depth=3
	s_or_b32 exec_lo, exec_lo, s27
	s_delay_alu instid0(SALU_CYCLE_1) | instskip(NEXT) | instid1(SALU_CYCLE_1)
	s_and_b32 s26, exec_lo, s28
	s_or_b32 s22, s26, s22
	s_and_not1_b32 s23, s23, exec_lo
	s_and_b32 s26, s24, exec_lo
	s_delay_alu instid0(SALU_CYCLE_1)
	s_or_b32 s23, s23, s26
	s_and_not1_b32 exec_lo, exec_lo, s22
	s_cbranch_execz .LBB0_113
.LBB0_109:                              ;   Parent Loop BB0_36 Depth=1
                                        ;     Parent Loop BB0_85 Depth=2
                                        ; =>    This Inner Loop Header: Depth=3
	s_add_co_i32 s25, s25, 1
	s_delay_alu instid0(SALU_CYCLE_1) | instskip(SKIP_1) | instid1(SALU_CYCLE_1)
	s_cmp_lg_u32 s25, 0x2710
	s_cselect_b32 s26, -1, 0
	s_and_b32 vcc_lo, exec_lo, s26
	s_cbranch_vccz .LBB0_111
; %bb.110:                              ;   in Loop: Header=BB0_109 Depth=3
	s_mov_b32 s28, -1
	s_or_b32 s24, s24, exec_lo
	s_and_saveexec_b32 s27, s26
	s_cbranch_execz .LBB0_108
	s_branch .LBB0_112
.LBB0_111:                              ;   in Loop: Header=BB0_109 Depth=3
	s_trap 2
	ds_load_b64 v[2:3], v0
	s_and_not1_b32 s26, s26, exec_lo
	s_mov_b32 s25, 0
	s_wait_loadcnt_dscnt 0x0
	flat_load_b32 v2, v[2:3] scope:SCOPE_SYS
	s_wait_loadcnt_dscnt 0x0
	global_inv scope:SCOPE_SYS
	v_cmp_eq_u32_e32 vcc_lo, 0, v2
	s_and_b32 s27, vcc_lo, exec_lo
	s_delay_alu instid0(SALU_CYCLE_1)
	s_or_b32 s26, s26, s27
	s_mov_b32 s28, -1
	s_or_b32 s24, s24, exec_lo
	s_and_saveexec_b32 s27, s26
	s_cbranch_execz .LBB0_108
.LBB0_112:                              ;   in Loop: Header=BB0_109 Depth=3
	s_sleep 1
	s_trap 2
	ds_load_b64 v[2:3], v0
	s_wait_dscnt 0x0
	s_and_not1_b32 s24, s24, exec_lo
	v_cmp_ge_u64_e32 vcc_lo, v[2:3], v[52:53]
	s_or_not1_b32 s28, vcc_lo, exec_lo
	s_branch .LBB0_108
.LBB0_113:                              ;   in Loop: Header=BB0_85 Depth=2
	s_or_b32 exec_lo, exec_lo, s22
	s_and_saveexec_b32 s22, s23
	s_delay_alu instid0(SALU_CYCLE_1)
	s_xor_b32 s22, exec_lo, s22
	s_cbranch_execz .LBB0_115
; %bb.114:                              ;   in Loop: Header=BB0_85 Depth=2
	ds_store_b32 v0, v1
	s_trap 2
.LBB0_115:                              ;   in Loop: Header=BB0_85 Depth=2
	s_or_b32 exec_lo, exec_lo, s21
	;;#ASMSTART
	s_wakeup
	;;#ASMEND
.LBB0_116:                              ;   in Loop: Header=BB0_85 Depth=2
	s_or_b32 exec_lo, exec_lo, s20
.LBB0_117:                              ;   in Loop: Header=BB0_85 Depth=2
	s_and_not1_saveexec_b32 s19, s19
	s_cbranch_execz .LBB0_119
; %bb.118:                              ;   in Loop: Header=BB0_85 Depth=2
	global_wb scope:SCOPE_DEV
	s_wait_storecnt 0x0
	s_wait_loadcnt_dscnt 0x0
	global_inv scope:SCOPE_DEV
	s_barrier_signal -1
	s_barrier_wait -1
.LBB0_119:                              ;   in Loop: Header=BB0_85 Depth=2
	s_or_b32 exec_lo, exec_lo, s19
.LBB0_120:                              ;   in Loop: Header=BB0_85 Depth=2
	s_delay_alu instid0(SALU_CYCLE_1)
	s_or_b32 exec_lo, exec_lo, s8
	v_dual_mov_b32 v118, v0 :: v_dual_add_nc_u32 v3, 1, v114
	s_and_saveexec_b32 s19, s7
	s_cbranch_execnz .LBB0_127
; %bb.121:                              ;   in Loop: Header=BB0_85 Depth=2
	s_or_b32 exec_lo, exec_lo, s19
	s_and_saveexec_b32 s8, s3
	s_cbranch_execnz .LBB0_466
.LBB0_122:                              ;   in Loop: Header=BB0_85 Depth=2
	s_or_b32 exec_lo, exec_lo, s8
	s_and_saveexec_b32 s8, s6
	s_cbranch_execz .LBB0_124
.LBB0_123:                              ;   in Loop: Header=BB0_85 Depth=2
	v_add_nc_u64_e32 v[38:39], 1, v[38:39]
	global_wb scope:SCOPE_SYS
	s_wait_storecnt 0x0
	s_wait_loadcnt_dscnt 0x0
	flat_store_b64 v[48:49], v[38:39] scope:SCOPE_SYS
.LBB0_124:                              ;   in Loop: Header=BB0_85 Depth=2
	s_wait_xcnt 0x0
	s_or_b32 exec_lo, exec_lo, s8
	v_and_b32_e32 v54, 0x7ffffff8, v114
	v_cmp_gt_i32_e64 s8, s15, v118
	s_delay_alu instid0(VALU_DEP_2) | instskip(SKIP_1) | instid1(SALU_CYCLE_1)
	v_cmp_eq_u64_e32 vcc_lo, 0x7ffffff8, v[54:55]
	s_and_b32 s19, vcc_lo, s8
	s_and_saveexec_b32 s8, s19
	s_cbranch_execz .LBB0_84
; %bb.125:                              ;   in Loop: Header=BB0_85 Depth=2
	v_dual_ashrrev_i32 v119, 31, v118 :: v_dual_bitop2_b32 v2, 7, v61 bitop3:0x40
	s_mov_b32 s19, 0
	s_wait_loadcnt_dscnt 0x0
	s_delay_alu instid0(VALU_DEP_1) | instskip(NEXT) | instid1(VALU_DEP_1)
	v_mul_lo_u32 v4, s15, v2
	v_dual_mov_b32 v2, v55 :: v_dual_ashrrev_i32 v5, 31, v4
	s_delay_alu instid0(VALU_DEP_1) | instskip(NEXT) | instid1(VALU_DEP_1)
	v_lshlrev_b64_e32 v[4:5], 4, v[4:5]
	v_lshl_add_u64 v[4:5], v[118:119], 4, v[4:5]
	s_delay_alu instid0(VALU_DEP_1)
	v_add_nc_u64_e32 v[16:17], v[36:37], v[4:5]
.LBB0_126:                              ;   Parent Loop BB0_36 Depth=1
                                        ;     Parent Loop BB0_85 Depth=2
                                        ; =>    This Inner Loop Header: Depth=3
	s_delay_alu instid0(VALU_DEP_4)
	v_dual_mov_b32 v4, v2 :: v_dual_mov_b32 v5, v3
	v_add_nc_u32_e32 v118, v118, v20
	global_store_b128 v[16:17], v[2:5], off
	v_cmp_le_i32_e32 vcc_lo, s15, v118
	s_wait_xcnt 0x0
	v_add_nc_u64_e32 v[16:17], v[16:17], v[102:103]
	s_or_b32 s19, vcc_lo, s19
	s_delay_alu instid0(SALU_CYCLE_1)
	s_and_not1_b32 exec_lo, exec_lo, s19
	s_cbranch_execnz .LBB0_126
	s_branch .LBB0_84
.LBB0_127:                              ;   in Loop: Header=BB0_85 Depth=2
	v_and_b32_e32 v2, 7, v34
	s_wait_loadcnt_dscnt 0x0
	v_mad_nc_u64_u32 v[40:41], v68, v4, v[116:117]
	v_dual_add_nc_u32 v62, 1, v34 :: v_dual_mov_b32 v118, v0
	s_mov_b32 s20, 0
	v_mul_lo_u32 v16, v2, s15
	v_dual_mov_b32 v63, v60 :: v_dual_bitop2_b32 v5, 7, v114 bitop3:0x40
	s_delay_alu instid0(VALU_DEP_4) | instskip(SKIP_1) | instid1(VALU_DEP_4)
	v_mad_u32 v2, v69, v4, v41
	v_ashrrev_i32_e32 v4, 31, v4
	v_ashrrev_i32_e32 v17, 31, v16
	s_delay_alu instid0(VALU_DEP_4) | instskip(NEXT) | instid1(VALU_DEP_2)
	v_mul_lo_u32 v18, v5, s15
	v_lshl_add_u64 v[42:43], v[16:17], 4, v[32:33]
	s_delay_alu instid0(VALU_DEP_4) | instskip(NEXT) | instid1(VALU_DEP_3)
	v_mad_u32 v41, v68, v4, v2
	v_ashrrev_i32_e32 v19, 31, v18
	s_delay_alu instid0(VALU_DEP_1)
	v_lshl_add_u64 v[44:45], v[18:19], 4, v[36:37]
	s_branch .LBB0_130
.LBB0_128:                              ;   in Loop: Header=BB0_130 Depth=3
	s_or_b32 exec_lo, exec_lo, s21
.LBB0_129:                              ;   in Loop: Header=BB0_130 Depth=3
	s_delay_alu instid0(SALU_CYCLE_1) | instskip(SKIP_4) | instid1(VALU_DEP_4)
	s_or_b32 exec_lo, exec_lo, s8
	v_dual_lshlrev_b32 v2, 8, v73 :: v_dual_lshlrev_b32 v5, 16, v46
	v_dual_lshlrev_b32 v16, 8, v74 :: v_dual_lshlrev_b32 v17, 16, v75
	v_dual_sub_nc_u32 v63, v63, v86 :: v_dual_lshlrev_b32 v18, 24, v47
	v_lshlrev_b32_e32 v4, 24, v4
	v_or3_b32 v2, v2, v72, v5
	s_delay_alu instid0(VALU_DEP_4)
	v_or3_b32 v5, v16, v19, v17
	v_add_nc_u64_e32 v[40:41], v[40:41], v[86:87]
	v_lshl_add_u64 v[16:17], v[118:119], 4, v[44:45]
	v_add_nc_u32_e32 v118, v118, v20
	v_cmp_gt_i32_e32 vcc_lo, 1, v63
	v_or3_b32 v2, v2, v18, 0
	v_or3_b32 v4, v5, v4, 0
	v_mov_b32_e32 v5, v3
	s_or_b32 s20, vcc_lo, s20
	global_store_b128 v[16:17], v[2:5], off
	s_wait_xcnt 0x0
	s_and_not1_b32 exec_lo, exec_lo, s20
	s_cbranch_execz .LBB0_465
.LBB0_130:                              ;   Parent Loop BB0_36 Depth=1
                                        ;     Parent Loop BB0_85 Depth=2
                                        ; =>    This Loop Header: Depth=3
                                        ;         Child Loop BB0_138 Depth 4
	s_delay_alu instid0(VALU_DEP_3)
	v_dual_mov_b32 v5, v41 :: v_dual_bitop2_b32 v4, -4, v40 bitop3:0x40
	v_min_u32_e32 v16, 8, v63
	v_dual_mov_b32 v74, 0 :: v_dual_bitop2_b32 v17, 3, v40 bitop3:0x40
	v_mov_b32_e32 v75, 0
	global_load_b32 v2, v[4:5], off th:TH_LOAD_NT
	s_mov_b32 s8, exec_lo
	v_add_nc_u32_e32 v54, v17, v16
	s_wait_xcnt 0x0
	s_delay_alu instid0(VALU_DEP_1)
	v_cmpx_lt_u32_e32 4, v54
	s_cbranch_execz .LBB0_132
; %bb.131:                              ;   in Loop: Header=BB0_130 Depth=3
	global_load_b32 v75, v[4:5], off offset:4 th:TH_LOAD_NT
.LBB0_132:                              ;   in Loop: Header=BB0_130 Depth=3
	s_wait_xcnt 0x0
	s_or_b32 exec_lo, exec_lo, s8
	s_delay_alu instid0(SALU_CYCLE_1)
	s_mov_b32 s8, exec_lo
	v_cmpx_lt_u64_e32 8, v[54:55]
	s_cbranch_execz .LBB0_134
; %bb.133:                              ;   in Loop: Header=BB0_130 Depth=3
	global_load_b32 v74, v[4:5], off offset:8 th:TH_LOAD_NT
.LBB0_134:                              ;   in Loop: Header=BB0_130 Depth=3
	s_wait_xcnt 0x0
	s_or_b32 exec_lo, exec_lo, s8
	v_ashrrev_i32_e32 v119, 31, v118
	s_mov_b32 s21, exec_lo
	s_delay_alu instid0(VALU_DEP_1)
	v_lshl_add_u64 v[4:5], v[118:119], 4, v[42:43]
	global_load_b128 v[16:19], v[4:5], off th:TH_LOAD_NT
	s_wait_xcnt 0x0
	v_cmpx_eq_u32_e32 0, v59
	s_cbranch_execz .LBB0_146
; %bb.135:                              ;   in Loop: Header=BB0_130 Depth=3
	s_wait_loadcnt 0x0
	v_cmp_ne_u32_e32 vcc_lo, v62, v17
	v_cmp_ne_u32_e64 s8, v62, v19
	v_mov_b32_e32 v59, 0
	s_or_b32 s8, vcc_lo, s8
	s_delay_alu instid0(SALU_CYCLE_1)
	s_and_saveexec_b32 s22, s8
	s_cbranch_execz .LBB0_145
; %bb.136:                              ;   in Loop: Header=BB0_130 Depth=3
	s_mov_b32 s26, 1
	s_mov_b32 s24, 0
                                        ; implicit-def: $sgpr23
                                        ; implicit-def: $sgpr25
	s_branch .LBB0_138
.LBB0_137:                              ;   in Loop: Header=BB0_138 Depth=4
	s_or_b32 exec_lo, exec_lo, s28
	s_delay_alu instid0(SALU_CYCLE_1) | instskip(NEXT) | instid1(SALU_CYCLE_1)
	s_and_b32 s8, exec_lo, s8
	s_or_b32 s24, s8, s24
	s_and_not1_b32 s8, s23, exec_lo
	s_and_b32 s23, s25, exec_lo
	s_delay_alu instid0(SALU_CYCLE_1)
	s_or_b32 s23, s8, s23
	s_and_not1_b32 exec_lo, exec_lo, s24
	s_cbranch_execz .LBB0_142
.LBB0_138:                              ;   Parent Loop BB0_36 Depth=1
                                        ;     Parent Loop BB0_85 Depth=2
                                        ;       Parent Loop BB0_130 Depth=3
                                        ; =>      This Inner Loop Header: Depth=4
	s_wait_loadcnt 0x0
	global_load_b128 v[16:19], v[4:5], off th:TH_LOAD_NT
	s_add_co_i32 s26, s26, 1
	s_mov_b32 s8, -1
	s_cmp_lg_u32 s26, 0x2710
	s_mov_b32 s27, -1
                                        ; implicit-def: $vgpr54
	s_cbranch_scc0 .LBB0_140
; %bb.139:                              ;   in Loop: Header=BB0_138 Depth=4
	s_or_b32 s25, s25, exec_lo
	s_wait_xcnt 0x0
	s_and_saveexec_b32 s28, s27
	s_cbranch_execz .LBB0_137
	s_branch .LBB0_141
.LBB0_140:                              ;   in Loop: Header=BB0_138 Depth=4
	s_trap 2
	ds_load_b64 v[46:47], v0
	s_mov_b32 s26, 0
	s_wait_storecnt 0x0
	s_wait_loadcnt_dscnt 0x0
	flat_load_b32 v54, v[46:47] scope:SCOPE_SYS
	s_wait_loadcnt_dscnt 0x0
	global_inv scope:SCOPE_SYS
	v_cmp_eq_u32_e32 vcc_lo, 0, v54
	s_or_not1_b32 s27, vcc_lo, exec_lo
	s_or_b32 s25, s25, exec_lo
	s_wait_xcnt 0x0
	s_and_saveexec_b32 s28, s27
	s_cbranch_execz .LBB0_137
.LBB0_141:                              ;   in Loop: Header=BB0_138 Depth=4
	s_wait_loadcnt 0x0
	v_cmp_eq_u32_e32 vcc_lo, v62, v17
	v_cmp_eq_u32_e64 s8, v62, v19
	s_and_not1_b32 s25, s25, exec_lo
	s_and_b32 s8, vcc_lo, s8
	s_delay_alu instid0(SALU_CYCLE_1)
	s_or_not1_b32 s8, s8, exec_lo
	s_branch .LBB0_137
.LBB0_142:                              ;   in Loop: Header=BB0_130 Depth=3
	s_or_b32 exec_lo, exec_lo, s24
	v_mov_b32_e32 v59, 0
	s_and_saveexec_b32 s8, s23
	s_delay_alu instid0(SALU_CYCLE_1)
	s_xor_b32 s8, exec_lo, s8
	s_cbranch_execz .LBB0_144
; %bb.143:                              ;   in Loop: Header=BB0_130 Depth=3
	v_mov_b32_e32 v59, 1
	s_wait_loadcnt 0x0
	s_wait_storecnt 0x0
	ds_store_b32 v0, v54
	s_trap 2
.LBB0_144:                              ;   in Loop: Header=BB0_130 Depth=3
	s_or_b32 exec_lo, exec_lo, s8
.LBB0_145:                              ;   in Loop: Header=BB0_130 Depth=3
	s_delay_alu instid0(SALU_CYCLE_1)
	s_or_b32 exec_lo, exec_lo, s22
.LBB0_146:                              ;   in Loop: Header=BB0_130 Depth=3
	s_delay_alu instid0(SALU_CYCLE_1) | instskip(SKIP_3) | instid1(VALU_DEP_2)
	s_or_b32 exec_lo, exec_lo, s21
	s_wait_loadcnt 0x0
	v_and_b32_e32 v5, 0xff, v16
	v_mov_b32_e32 v4, 0
	v_cmp_ne_u16_e32 vcc_lo, 0, v5
	v_mov_b32_e32 v5, 0
	s_and_saveexec_b32 s8, vcc_lo
	s_cbranch_execz .LBB0_156
; %bb.147:                              ;   in Loop: Header=BB0_130 Depth=3
	v_bfe_i32 v46, v16, 0, 8
	v_bfrev_b32_e32 v5, 1
	s_mov_b32 s21, exec_lo
	s_delay_alu instid0(VALU_DEP_2)
	v_cmpx_ne_u16_e32 0xff80, v46
	s_cbranch_execz .LBB0_155
; %bb.148:                              ;   in Loop: Header=BB0_130 Depth=3
	v_and_b32_e32 v5, 0x7c, v16
	v_and_b32_e32 v54, 3, v16
	s_delay_alu instid0(VALU_DEP_2) | instskip(SKIP_1) | instid1(SALU_CYCLE_1)
	v_cmp_ne_u32_e32 vcc_lo, 0x7c, v5
                                        ; implicit-def: $vgpr5
	s_and_saveexec_b32 s22, vcc_lo
	s_xor_b32 s22, exec_lo, s22
	s_cbranch_execz .LBB0_152
; %bb.149:                              ;   in Loop: Header=BB0_130 Depth=3
	v_bfe_u32 v5, v16, 2, 5
	s_mov_b32 s23, exec_lo
	s_delay_alu instid0(VALU_DEP_1)
	v_cmpx_eq_u32_e32 0, v5
; %bb.150:                              ;   in Loop: Header=BB0_130 Depth=3
	v_clz_i32_u32_e32 v5, v54
	s_delay_alu instid0(VALU_DEP_1) | instskip(NEXT) | instid1(VALU_DEP_1)
	v_min_u32_e32 v5, 32, v5
	v_subrev_nc_u32_e32 v54, 29, v5
	s_delay_alu instid0(VALU_DEP_1) | instskip(NEXT) | instid1(VALU_DEP_1)
	v_lshlrev_b64_e32 v[46:47], v54, v[16:17]
	v_dual_sub_nc_u32 v5, 30, v5 :: v_dual_bitop2_b32 v54, 3, v46 bitop3:0x40
; %bb.151:                              ;   in Loop: Header=BB0_130 Depth=3
	s_or_b32 exec_lo, exec_lo, s23
	v_lshlrev_b32_e32 v17, 24, v16
                                        ; implicit-def: $vgpr46
	s_delay_alu instid0(VALU_DEP_1) | instskip(NEXT) | instid1(VALU_DEP_1)
	v_and_b32_e32 v17, 0x80000000, v17
	v_lshl_add_u32 v5, v5, 23, v17
	s_delay_alu instid0(VALU_DEP_1) | instskip(NEXT) | instid1(VALU_DEP_1)
	v_lshl_or_b32 v5, v54, 21, v5
                                        ; implicit-def: $vgpr54
	v_add_nc_u32_e32 v5, 0x38000000, v5
.LBB0_152:                              ;   in Loop: Header=BB0_130 Depth=3
	s_and_not1_saveexec_b32 s22, s22
; %bb.153:                              ;   in Loop: Header=BB0_130 Depth=3
	v_cmp_lt_i16_e32 vcc_lo, -1, v46
	v_cndmask_b32_e32 v5, 0xff800000, v21, vcc_lo
	v_cmp_eq_u32_e32 vcc_lo, 0, v54
	s_delay_alu instid0(VALU_DEP_2)
	v_cndmask_b32_e32 v5, 0x7f800001, v5, vcc_lo
; %bb.154:                              ;   in Loop: Header=BB0_130 Depth=3
	s_or_b32 exec_lo, exec_lo, s22
.LBB0_155:                              ;   in Loop: Header=BB0_130 Depth=3
	s_delay_alu instid0(SALU_CYCLE_1)
	s_or_b32 exec_lo, exec_lo, s21
.LBB0_156:                              ;   in Loop: Header=BB0_130 Depth=3
	s_delay_alu instid0(SALU_CYCLE_1) | instskip(SKIP_2) | instid1(VALU_DEP_1)
	s_or_b32 exec_lo, exec_lo, s8
	v_lshlrev_b32_e32 v76, 3, v40
	s_mov_b32 s8, exec_lo
	v_alignbit_b32 v54, v75, v2, v76
	s_delay_alu instid0(VALU_DEP_1) | instskip(NEXT) | instid1(VALU_DEP_1)
	v_and_b32_e32 v2, 0xff, v54
	v_cmpx_ne_u16_e32 0, v2
	s_cbranch_execz .LBB0_166
; %bb.157:                              ;   in Loop: Header=BB0_130 Depth=3
	v_bfe_i32 v17, v54, 0, 8
	v_bfrev_b32_e32 v4, 1
	s_mov_b32 s21, exec_lo
	s_delay_alu instid0(VALU_DEP_2)
	v_cmpx_ne_u16_e32 0xff80, v17
	s_cbranch_execz .LBB0_165
; %bb.158:                              ;   in Loop: Header=BB0_130 Depth=3
	v_and_b32_e32 v4, 0x7c, v54
	v_and_b32_e32 v2, 3, v54
	s_delay_alu instid0(VALU_DEP_2) | instskip(SKIP_1) | instid1(SALU_CYCLE_1)
	v_cmp_ne_u32_e32 vcc_lo, 0x7c, v4
                                        ; implicit-def: $vgpr4
	s_and_saveexec_b32 s22, vcc_lo
	s_xor_b32 s22, exec_lo, s22
	s_cbranch_execz .LBB0_162
; %bb.159:                              ;   in Loop: Header=BB0_130 Depth=3
	v_bfe_u32 v4, v54, 2, 5
	s_mov_b32 s23, exec_lo
	s_delay_alu instid0(VALU_DEP_1)
	v_cmpx_eq_u32_e32 0, v4
; %bb.160:                              ;   in Loop: Header=BB0_130 Depth=3
	v_clz_i32_u32_e32 v2, v2
	s_delay_alu instid0(VALU_DEP_1) | instskip(NEXT) | instid1(VALU_DEP_1)
	v_min_u32_e32 v2, 32, v2
	v_subrev_nc_u32_e32 v4, 29, v2
	s_delay_alu instid0(VALU_DEP_1) | instskip(SKIP_1) | instid1(VALU_DEP_2)
	v_lshlrev_b64_e32 v[46:47], v4, v[54:55]
	v_sub_nc_u32_e32 v4, 30, v2
	v_and_b32_e32 v2, 3, v46
; %bb.161:                              ;   in Loop: Header=BB0_130 Depth=3
	s_or_b32 exec_lo, exec_lo, s23
	v_lshlrev_b32_e32 v17, 24, v54
	s_delay_alu instid0(VALU_DEP_1) | instskip(NEXT) | instid1(VALU_DEP_1)
	v_and_b32_e32 v17, 0x80000000, v17
	v_lshl_add_u32 v4, v4, 23, v17
                                        ; implicit-def: $vgpr17
	s_delay_alu instid0(VALU_DEP_1) | instskip(NEXT) | instid1(VALU_DEP_1)
	v_lshl_or_b32 v2, v2, 21, v4
	v_add_nc_u32_e32 v4, 0x38000000, v2
                                        ; implicit-def: $vgpr2
.LBB0_162:                              ;   in Loop: Header=BB0_130 Depth=3
	s_and_not1_saveexec_b32 s22, s22
; %bb.163:                              ;   in Loop: Header=BB0_130 Depth=3
	v_cmp_lt_i16_e32 vcc_lo, -1, v17
	v_cndmask_b32_e32 v4, 0xff800000, v21, vcc_lo
	v_cmp_eq_u32_e32 vcc_lo, 0, v2
	s_delay_alu instid0(VALU_DEP_2)
	v_cndmask_b32_e32 v4, 0x7f800001, v4, vcc_lo
; %bb.164:                              ;   in Loop: Header=BB0_130 Depth=3
	s_or_b32 exec_lo, exec_lo, s22
.LBB0_165:                              ;   in Loop: Header=BB0_130 Depth=3
	s_delay_alu instid0(SALU_CYCLE_1)
	s_or_b32 exec_lo, exec_lo, s21
.LBB0_166:                              ;   in Loop: Header=BB0_130 Depth=3
	s_delay_alu instid0(SALU_CYCLE_1) | instskip(NEXT) | instid1(VALU_DEP_1)
	s_or_b32 exec_lo, exec_lo, s8
	v_dual_mul_f32 v17, v5, v4 :: v_dual_mov_b32 v47, v55
	v_mov_b32_e32 v5, v55
                                        ; implicit-def: $vgpr72
	s_mov_b32 s8, exec_lo
	s_delay_alu instid0(VALU_DEP_2) | instskip(SKIP_2) | instid1(VALU_DEP_3)
	v_and_b32_e32 v46, 0x7f800000, v17
	v_and_b32_e32 v4, 0x7fffff, v17
	v_lshrrev_b32_e32 v2, 24, v17
	v_cmpx_ne_u64_e32 0x7f800000, v[46:47]
	s_xor_b32 s21, exec_lo, s8
	s_cbranch_execz .LBB0_180
; %bb.167:                              ;   in Loop: Header=BB0_130 Depth=3
	v_and_b32_e32 v46, 0x7fffffff, v17
	v_mov_b32_e32 v47, v55
	v_and_b32_e32 v2, 0x80, v2
                                        ; implicit-def: $vgpr72
	s_mov_b32 s8, exec_lo
	s_delay_alu instid0(VALU_DEP_2)
	v_cmpx_gt_u64_e32 0x47600001, v[46:47]
	s_xor_b32 s22, exec_lo, s8
	s_cbranch_execz .LBB0_177
; %bb.168:                              ;   in Loop: Header=BB0_130 Depth=3
	v_mov_b32_e32 v72, 0
	s_mov_b32 s23, exec_lo
	v_cmpx_ne_u32_e32 0, v17
	s_cbranch_execz .LBB0_176
; %bb.169:                              ;   in Loop: Header=BB0_130 Depth=3
	v_bfe_u32 v17, v17, 23, 8
	v_or_b32_e32 v73, 0x800000, v4
	s_delay_alu instid0(VALU_DEP_2) | instskip(SKIP_1) | instid1(VALU_DEP_2)
	v_sub_nc_u32_e32 v46, 0x71, v17
	v_cmp_gt_u32_e32 vcc_lo, 0x72, v17
	v_cndmask_b32_e32 v46, 0, v46, vcc_lo
	v_cmp_eq_u32_e32 vcc_lo, 0, v17
	s_delay_alu instid0(VALU_DEP_2) | instskip(SKIP_1) | instid1(VALU_DEP_2)
	v_cndmask_b32_e64 v72, v46, 0x70, vcc_lo
	v_cndmask_b32_e32 v4, v73, v4, vcc_lo
	v_dual_add_nc_u32 v46, 21, v72 :: v_dual_add_nc_u32 v77, 20, v72
	s_delay_alu instid0(VALU_DEP_1) | instskip(NEXT) | instid1(VALU_DEP_2)
	v_lshlrev_b64_e64 v[46:47], v46, -1
	v_lshlrev_b64_e64 v[78:79], v77, 1
	s_delay_alu instid0(VALU_DEP_2) | instskip(SKIP_1) | instid1(VALU_DEP_4)
	v_bfi_b32 v46, v46, 0, v4
	v_lshrrev_b64 v[4:5], v72, v[4:5]
	v_bfi_b32 v47, v47, 0, 0
	s_delay_alu instid0(VALU_DEP_1) | instskip(NEXT) | instid1(VALU_DEP_3)
	v_cmp_eq_u64_e64 s8, v[46:47], v[78:79]
	v_mov_b64_e32 v[46:47], v[4:5]
	s_and_saveexec_b32 s24, s8
; %bb.170:                              ;   in Loop: Header=BB0_130 Depth=3
	v_bfe_u32 v46, v4, 21, 1
	v_mov_b32_e32 v47, v55
	s_delay_alu instid0(VALU_DEP_1) | instskip(NEXT) | instid1(VALU_DEP_1)
	v_add_nc_u64_e32 v[46:47], v[4:5], v[46:47]
	v_add_nc_u64_e32 v[46:47], -1, v[46:47]
; %bb.171:                              ;   in Loop: Header=BB0_130 Depth=3
	s_or_b32 exec_lo, exec_lo, s24
	v_add_nc_u32_e32 v5, 0xffffff81, v17
	v_lshrrev_b32_e32 v17, 23, v4
	s_mov_b32 s8, exec_lo
	s_delay_alu instid0(VALU_DEP_2) | instskip(NEXT) | instid1(VALU_DEP_1)
	v_cndmask_b32_e64 v5, v5, 0xffffff82, vcc_lo
	v_add3_u32 v47, v72, v5, v17
	v_and_b32_e32 v5, 0x1fffff, v46
                                        ; implicit-def: $vgpr17
	s_delay_alu instid0(VALU_DEP_1) | instskip(SKIP_1) | instid1(VALU_DEP_2)
	v_dual_add_nc_u32 v46, 14, v47 :: v_dual_add_nc_u32 v4, v5, v4
	v_mov_b32_e32 v5, v55
	v_cmpx_ne_u32_e32 0, v46
	s_xor_b32 s8, exec_lo, s8
; %bb.172:                              ;   in Loop: Header=BB0_130 Depth=3
	s_delay_alu instid0(VALU_DEP_2) | instskip(SKIP_1) | instid1(VALU_DEP_1)
	v_cmp_lt_u64_e32 vcc_lo, 0xffffff, v[4:5]
	v_add_nc_u32_e32 v17, 15, v47
	v_cndmask_b32_e32 v17, v46, v17, vcc_lo
	v_cndmask_b32_e64 v46, 0, 1, vcc_lo
	s_delay_alu instid0(VALU_DEP_1)
	v_lshrrev_b64 v[4:5], v46, v[4:5]
; %bb.173:                              ;   in Loop: Header=BB0_130 Depth=3
	s_and_not1_saveexec_b32 s8, s8
; %bb.174:                              ;   in Loop: Header=BB0_130 Depth=3
	s_delay_alu instid0(VALU_DEP_1)
	v_bfe_u32 v17, v4, 23, 1
; %bb.175:                              ;   in Loop: Header=BB0_130 Depth=3
	s_or_b32 exec_lo, exec_lo, s8
	s_delay_alu instid0(VALU_DEP_2) | instskip(NEXT) | instid1(VALU_DEP_2)
	v_lshrrev_b64 v[4:5], 21, v[4:5]
	v_cmp_gt_i32_e32 vcc_lo, 32, v17
	v_min_i32_e32 v46, 31, v17
	v_cmp_eq_u32_e64 s8, 0, v17
	s_delay_alu instid0(VALU_DEP_2) | instskip(SKIP_1) | instid1(VALU_DEP_2)
	v_dual_cndmask_b32 v4, 3, v4, vcc_lo :: v_dual_lshlrev_b32 v46, 2, v46
	v_cndmask_b32_e32 v5, 0, v5, vcc_lo
	v_and_b32_e32 v46, 0xfc, v46
	s_delay_alu instid0(VALU_DEP_2) | instskip(NEXT) | instid1(VALU_DEP_2)
	v_cmp_eq_u64_e32 vcc_lo, 0, v[4:5]
	v_and_or_b32 v4, v4, 3, v46
	s_and_b32 s8, s8, vcc_lo
	s_delay_alu instid0(VALU_DEP_1) | instid1(SALU_CYCLE_1)
	v_cndmask_b32_e64 v4, v4, 0, s8
	s_delay_alu instid0(VALU_DEP_1)
	v_or_b32_e32 v72, v4, v2
.LBB0_176:                              ;   in Loop: Header=BB0_130 Depth=3
	s_or_b32 exec_lo, exec_lo, s23
                                        ; implicit-def: $vgpr2
.LBB0_177:                              ;   in Loop: Header=BB0_130 Depth=3
	s_and_not1_saveexec_b32 s8, s22
; %bb.178:                              ;   in Loop: Header=BB0_130 Depth=3
	v_or_b32_e32 v72, 0x7b, v2
; %bb.179:                              ;   in Loop: Header=BB0_130 Depth=3
	s_or_b32 exec_lo, exec_lo, s8
                                        ; implicit-def: $vgpr17
                                        ; implicit-def: $vgpr4_vgpr5
                                        ; implicit-def: $vgpr2
.LBB0_180:                              ;   in Loop: Header=BB0_130 Depth=3
	s_and_not1_saveexec_b32 s8, s21
	s_cbranch_execz .LBB0_186
; %bb.181:                              ;   in Loop: Header=BB0_130 Depth=3
	s_mov_b32 s21, exec_lo
                                        ; implicit-def: $vgpr72
	v_cmpx_ne_u64_e32 0, v[4:5]
	s_xor_b32 s21, exec_lo, s21
; %bb.182:                              ;   in Loop: Header=BB0_130 Depth=3
	v_or_b32_e32 v72, 0x7f, v2
                                        ; implicit-def: $vgpr17
; %bb.183:                              ;   in Loop: Header=BB0_130 Depth=3
	s_and_not1_saveexec_b32 s21, s21
; %bb.184:                              ;   in Loop: Header=BB0_130 Depth=3
	v_cmp_lt_i32_e32 vcc_lo, -1, v17
	v_cndmask_b32_e32 v72, 0xfc, v58, vcc_lo
; %bb.185:                              ;   in Loop: Header=BB0_130 Depth=3
	s_or_b32 exec_lo, exec_lo, s21
.LBB0_186:                              ;   in Loop: Header=BB0_130 Depth=3
	s_delay_alu instid0(SALU_CYCLE_1) | instskip(SKIP_3) | instid1(VALU_DEP_2)
	s_or_b32 exec_lo, exec_lo, s8
	v_lshrrev_b16 v4, 8, v16
	v_dual_mov_b32 v2, 0 :: v_dual_mov_b32 v17, 0
	s_mov_b32 s8, exec_lo
	v_cmpx_ne_u16_e32 0, v4
	s_cbranch_execz .LBB0_196
; %bb.187:                              ;   in Loop: Header=BB0_130 Depth=3
	v_bfrev_b32_e32 v17, 1
	s_mov_b32 s21, exec_lo
	v_cmpx_ne_u16_e32 0x80, v4
	s_cbranch_execz .LBB0_195
; %bb.188:                              ;   in Loop: Header=BB0_130 Depth=3
	v_and_b32_e32 v46, 0xffff, v4
	s_delay_alu instid0(VALU_DEP_1) | instskip(SKIP_1) | instid1(VALU_DEP_2)
	v_and_b32_e32 v17, 0x7c, v46
	v_and_b32_e32 v5, 3, v46
	v_cmp_ne_u32_e32 vcc_lo, 0x7c, v17
                                        ; implicit-def: $vgpr17
	s_and_saveexec_b32 s22, vcc_lo
	s_delay_alu instid0(SALU_CYCLE_1)
	s_xor_b32 s22, exec_lo, s22
	s_cbranch_execz .LBB0_192
; %bb.189:                              ;   in Loop: Header=BB0_130 Depth=3
	v_bfe_u32 v17, v46, 2, 5
	s_mov_b32 s23, exec_lo
	s_delay_alu instid0(VALU_DEP_1)
	v_cmpx_eq_u32_e32 0, v17
	s_cbranch_execz .LBB0_191
; %bb.190:                              ;   in Loop: Header=BB0_130 Depth=3
	v_clz_i32_u32_e32 v5, v5
	s_delay_alu instid0(VALU_DEP_1) | instskip(SKIP_1) | instid1(VALU_DEP_2)
	v_min_u32_e32 v17, 32, v5
	v_mov_b32_e32 v5, v55
	v_subrev_nc_u32_e32 v46, 29, v17
	v_sub_nc_u32_e32 v17, 30, v17
	s_delay_alu instid0(VALU_DEP_2) | instskip(NEXT) | instid1(VALU_DEP_1)
	v_lshlrev_b64_e32 v[4:5], v46, v[4:5]
	v_and_b32_e32 v5, 3, v4
.LBB0_191:                              ;   in Loop: Header=BB0_130 Depth=3
	s_or_b32 exec_lo, exec_lo, s23
	v_lshlrev_b32_e32 v4, 16, v16
	s_delay_alu instid0(VALU_DEP_1) | instskip(NEXT) | instid1(VALU_DEP_1)
	v_and_b32_e32 v4, 0x80000000, v4
	v_lshl_add_u32 v4, v17, 23, v4
	s_delay_alu instid0(VALU_DEP_1) | instskip(NEXT) | instid1(VALU_DEP_1)
	v_lshl_or_b32 v4, v5, 21, v4
                                        ; implicit-def: $vgpr5
	v_add_nc_u32_e32 v17, 0x38000000, v4
.LBB0_192:                              ;   in Loop: Header=BB0_130 Depth=3
	s_and_not1_saveexec_b32 s22, s22
; %bb.193:                              ;   in Loop: Header=BB0_130 Depth=3
	v_cmp_lt_i16_e32 vcc_lo, -1, v16
	v_cndmask_b32_e32 v4, 0xff800000, v21, vcc_lo
	v_cmp_eq_u32_e32 vcc_lo, 0, v5
	s_delay_alu instid0(VALU_DEP_2)
	v_cndmask_b32_e32 v17, 0x7f800001, v4, vcc_lo
; %bb.194:                              ;   in Loop: Header=BB0_130 Depth=3
	s_or_b32 exec_lo, exec_lo, s22
.LBB0_195:                              ;   in Loop: Header=BB0_130 Depth=3
	s_delay_alu instid0(SALU_CYCLE_1)
	s_or_b32 exec_lo, exec_lo, s21
.LBB0_196:                              ;   in Loop: Header=BB0_130 Depth=3
	s_delay_alu instid0(SALU_CYCLE_1) | instskip(SKIP_2) | instid1(VALU_DEP_1)
	s_or_b32 exec_lo, exec_lo, s8
	v_lshrrev_b16 v4, 8, v54
	s_mov_b32 s8, exec_lo
	v_cmpx_ne_u16_e32 0, v4
	s_cbranch_execz .LBB0_206
; %bb.197:                              ;   in Loop: Header=BB0_130 Depth=3
	v_bfrev_b32_e32 v2, 1
	s_mov_b32 s21, exec_lo
	v_cmpx_ne_u16_e32 0x80, v4
	s_cbranch_execz .LBB0_205
; %bb.198:                              ;   in Loop: Header=BB0_130 Depth=3
	v_and_b32_e32 v46, 0xffff, v4
	s_delay_alu instid0(VALU_DEP_1) | instskip(SKIP_1) | instid1(VALU_DEP_2)
	v_and_b32_e32 v2, 0x7c, v46
	v_and_b32_e32 v5, 3, v46
	v_cmp_ne_u32_e32 vcc_lo, 0x7c, v2
                                        ; implicit-def: $vgpr2
	s_and_saveexec_b32 s22, vcc_lo
	s_delay_alu instid0(SALU_CYCLE_1)
	s_xor_b32 s22, exec_lo, s22
	s_cbranch_execz .LBB0_202
; %bb.199:                              ;   in Loop: Header=BB0_130 Depth=3
	v_bfe_u32 v2, v46, 2, 5
	s_mov_b32 s23, exec_lo
	s_delay_alu instid0(VALU_DEP_1)
	v_cmpx_eq_u32_e32 0, v2
	s_cbranch_execz .LBB0_201
; %bb.200:                              ;   in Loop: Header=BB0_130 Depth=3
	v_clz_i32_u32_e32 v2, v5
	s_delay_alu instid0(VALU_DEP_1) | instskip(SKIP_1) | instid1(VALU_DEP_2)
	v_min_u32_e32 v2, 32, v2
	v_mov_b32_e32 v5, v55
	v_subrev_nc_u32_e32 v46, 29, v2
	v_sub_nc_u32_e32 v2, 30, v2
	s_delay_alu instid0(VALU_DEP_2) | instskip(NEXT) | instid1(VALU_DEP_1)
	v_lshlrev_b64_e32 v[4:5], v46, v[4:5]
	v_and_b32_e32 v5, 3, v4
.LBB0_201:                              ;   in Loop: Header=BB0_130 Depth=3
	s_or_b32 exec_lo, exec_lo, s23
	v_lshlrev_b32_e32 v4, 16, v54
	s_delay_alu instid0(VALU_DEP_1) | instskip(NEXT) | instid1(VALU_DEP_1)
	v_and_b32_e32 v4, 0x80000000, v4
	v_lshl_add_u32 v2, v2, 23, v4
	s_delay_alu instid0(VALU_DEP_1) | instskip(NEXT) | instid1(VALU_DEP_1)
	v_lshl_or_b32 v2, v5, 21, v2
                                        ; implicit-def: $vgpr5
	v_add_nc_u32_e32 v2, 0x38000000, v2
.LBB0_202:                              ;   in Loop: Header=BB0_130 Depth=3
	s_and_not1_saveexec_b32 s22, s22
; %bb.203:                              ;   in Loop: Header=BB0_130 Depth=3
	v_cmp_lt_i16_e32 vcc_lo, -1, v54
	v_cndmask_b32_e32 v2, 0xff800000, v21, vcc_lo
	v_cmp_eq_u32_e32 vcc_lo, 0, v5
	s_delay_alu instid0(VALU_DEP_2)
	v_cndmask_b32_e32 v2, 0x7f800001, v2, vcc_lo
; %bb.204:                              ;   in Loop: Header=BB0_130 Depth=3
	s_or_b32 exec_lo, exec_lo, s22
.LBB0_205:                              ;   in Loop: Header=BB0_130 Depth=3
	s_delay_alu instid0(SALU_CYCLE_1)
	s_or_b32 exec_lo, exec_lo, s21
.LBB0_206:                              ;   in Loop: Header=BB0_130 Depth=3
	s_delay_alu instid0(SALU_CYCLE_1) | instskip(NEXT) | instid1(VALU_DEP_1)
	s_or_b32 exec_lo, exec_lo, s8
	v_dual_mul_f32 v17, v17, v2 :: v_dual_mov_b32 v47, v55
	v_mov_b32_e32 v5, v55
                                        ; implicit-def: $vgpr73
	s_mov_b32 s8, exec_lo
	s_delay_alu instid0(VALU_DEP_2) | instskip(SKIP_2) | instid1(VALU_DEP_3)
	v_and_b32_e32 v46, 0x7f800000, v17
	v_and_b32_e32 v4, 0x7fffff, v17
	v_lshrrev_b32_e32 v2, 24, v17
	v_cmpx_ne_u64_e32 0x7f800000, v[46:47]
	s_xor_b32 s21, exec_lo, s8
	s_cbranch_execz .LBB0_220
; %bb.207:                              ;   in Loop: Header=BB0_130 Depth=3
	v_and_b32_e32 v46, 0x7fffffff, v17
	v_mov_b32_e32 v47, v55
	v_and_b32_e32 v2, 0x80, v2
                                        ; implicit-def: $vgpr73
	s_mov_b32 s8, exec_lo
	s_delay_alu instid0(VALU_DEP_2)
	v_cmpx_gt_u64_e32 0x47600001, v[46:47]
	s_xor_b32 s22, exec_lo, s8
	s_cbranch_execz .LBB0_217
; %bb.208:                              ;   in Loop: Header=BB0_130 Depth=3
	v_mov_b32_e32 v73, 0
	s_mov_b32 s23, exec_lo
	v_cmpx_ne_u32_e32 0, v17
	s_cbranch_execz .LBB0_216
; %bb.209:                              ;   in Loop: Header=BB0_130 Depth=3
	v_bfe_u32 v17, v17, 23, 8
	v_or_b32_e32 v77, 0x800000, v4
	s_delay_alu instid0(VALU_DEP_2) | instskip(SKIP_1) | instid1(VALU_DEP_2)
	v_sub_nc_u32_e32 v46, 0x71, v17
	v_cmp_gt_u32_e32 vcc_lo, 0x72, v17
	v_cndmask_b32_e32 v46, 0, v46, vcc_lo
	v_cmp_eq_u32_e32 vcc_lo, 0, v17
	s_delay_alu instid0(VALU_DEP_2) | instskip(NEXT) | instid1(VALU_DEP_1)
	v_cndmask_b32_e64 v73, v46, 0x70, vcc_lo
	v_dual_cndmask_b32 v4, v77, v4, vcc_lo :: v_dual_add_nc_u32 v46, 21, v73
	v_add_nc_u32_e32 v78, 20, v73
	s_delay_alu instid0(VALU_DEP_2) | instskip(NEXT) | instid1(VALU_DEP_2)
	v_lshlrev_b64_e64 v[46:47], v46, -1
	v_lshlrev_b64_e64 v[78:79], v78, 1
	s_delay_alu instid0(VALU_DEP_2) | instskip(SKIP_1) | instid1(VALU_DEP_4)
	v_bfi_b32 v46, v46, 0, v4
	v_lshrrev_b64 v[4:5], v73, v[4:5]
	v_bfi_b32 v47, v47, 0, 0
	s_delay_alu instid0(VALU_DEP_1) | instskip(NEXT) | instid1(VALU_DEP_3)
	v_cmp_eq_u64_e64 s8, v[46:47], v[78:79]
	v_mov_b64_e32 v[46:47], v[4:5]
	s_and_saveexec_b32 s24, s8
; %bb.210:                              ;   in Loop: Header=BB0_130 Depth=3
	v_bfe_u32 v46, v4, 21, 1
	v_mov_b32_e32 v47, v55
	s_delay_alu instid0(VALU_DEP_1) | instskip(NEXT) | instid1(VALU_DEP_1)
	v_add_nc_u64_e32 v[46:47], v[4:5], v[46:47]
	v_add_nc_u64_e32 v[46:47], -1, v[46:47]
; %bb.211:                              ;   in Loop: Header=BB0_130 Depth=3
	s_or_b32 exec_lo, exec_lo, s24
	v_add_nc_u32_e32 v5, 0xffffff81, v17
	v_lshrrev_b32_e32 v17, 23, v4
	s_mov_b32 s8, exec_lo
	s_delay_alu instid0(VALU_DEP_2) | instskip(NEXT) | instid1(VALU_DEP_1)
	v_cndmask_b32_e64 v5, v5, 0xffffff82, vcc_lo
	v_add3_u32 v47, v73, v5, v17
	v_and_b32_e32 v5, 0x1fffff, v46
                                        ; implicit-def: $vgpr17
	s_delay_alu instid0(VALU_DEP_1) | instskip(SKIP_1) | instid1(VALU_DEP_2)
	v_dual_add_nc_u32 v46, 14, v47 :: v_dual_add_nc_u32 v4, v5, v4
	v_mov_b32_e32 v5, v55
	v_cmpx_ne_u32_e32 0, v46
	s_xor_b32 s8, exec_lo, s8
; %bb.212:                              ;   in Loop: Header=BB0_130 Depth=3
	s_delay_alu instid0(VALU_DEP_2) | instskip(SKIP_1) | instid1(VALU_DEP_1)
	v_cmp_lt_u64_e32 vcc_lo, 0xffffff, v[4:5]
	v_add_nc_u32_e32 v17, 15, v47
	v_cndmask_b32_e32 v17, v46, v17, vcc_lo
	v_cndmask_b32_e64 v46, 0, 1, vcc_lo
	s_delay_alu instid0(VALU_DEP_1)
	v_lshrrev_b64 v[4:5], v46, v[4:5]
; %bb.213:                              ;   in Loop: Header=BB0_130 Depth=3
	s_and_not1_saveexec_b32 s8, s8
; %bb.214:                              ;   in Loop: Header=BB0_130 Depth=3
	s_delay_alu instid0(VALU_DEP_1)
	v_bfe_u32 v17, v4, 23, 1
; %bb.215:                              ;   in Loop: Header=BB0_130 Depth=3
	s_or_b32 exec_lo, exec_lo, s8
	s_delay_alu instid0(VALU_DEP_2) | instskip(NEXT) | instid1(VALU_DEP_2)
	v_lshrrev_b64 v[4:5], 21, v[4:5]
	v_cmp_gt_i32_e32 vcc_lo, 32, v17
	v_min_i32_e32 v46, 31, v17
	v_cmp_eq_u32_e64 s8, 0, v17
	s_delay_alu instid0(VALU_DEP_2) | instskip(SKIP_1) | instid1(VALU_DEP_2)
	v_dual_cndmask_b32 v4, 3, v4, vcc_lo :: v_dual_lshlrev_b32 v46, 2, v46
	v_cndmask_b32_e32 v5, 0, v5, vcc_lo
	v_and_b32_e32 v46, 0xfc, v46
	s_delay_alu instid0(VALU_DEP_2) | instskip(NEXT) | instid1(VALU_DEP_2)
	v_cmp_eq_u64_e32 vcc_lo, 0, v[4:5]
	v_and_or_b32 v4, v4, 3, v46
	s_and_b32 s8, s8, vcc_lo
	s_delay_alu instid0(VALU_DEP_1) | instid1(SALU_CYCLE_1)
	v_cndmask_b32_e64 v4, v4, 0, s8
	s_delay_alu instid0(VALU_DEP_1)
	v_or_b32_e32 v73, v4, v2
.LBB0_216:                              ;   in Loop: Header=BB0_130 Depth=3
	s_or_b32 exec_lo, exec_lo, s23
                                        ; implicit-def: $vgpr2
.LBB0_217:                              ;   in Loop: Header=BB0_130 Depth=3
	s_and_not1_saveexec_b32 s8, s22
; %bb.218:                              ;   in Loop: Header=BB0_130 Depth=3
	v_or_b32_e32 v73, 0x7b, v2
; %bb.219:                              ;   in Loop: Header=BB0_130 Depth=3
	s_or_b32 exec_lo, exec_lo, s8
                                        ; implicit-def: $vgpr17
                                        ; implicit-def: $vgpr4_vgpr5
                                        ; implicit-def: $vgpr2
.LBB0_220:                              ;   in Loop: Header=BB0_130 Depth=3
	s_and_not1_saveexec_b32 s8, s21
	s_cbranch_execz .LBB0_226
; %bb.221:                              ;   in Loop: Header=BB0_130 Depth=3
	s_mov_b32 s21, exec_lo
                                        ; implicit-def: $vgpr73
	v_cmpx_ne_u64_e32 0, v[4:5]
	s_xor_b32 s21, exec_lo, s21
; %bb.222:                              ;   in Loop: Header=BB0_130 Depth=3
	v_or_b32_e32 v73, 0x7f, v2
                                        ; implicit-def: $vgpr17
; %bb.223:                              ;   in Loop: Header=BB0_130 Depth=3
	s_and_not1_saveexec_b32 s21, s21
; %bb.224:                              ;   in Loop: Header=BB0_130 Depth=3
	v_cmp_lt_i32_e32 vcc_lo, -1, v17
	v_cndmask_b32_e32 v73, 0xfc, v58, vcc_lo
; %bb.225:                              ;   in Loop: Header=BB0_130 Depth=3
	s_or_b32 exec_lo, exec_lo, s21
.LBB0_226:                              ;   in Loop: Header=BB0_130 Depth=3
	s_delay_alu instid0(SALU_CYCLE_1) | instskip(SKIP_3) | instid1(VALU_DEP_2)
	s_or_b32 exec_lo, exec_lo, s8
	v_dual_mov_b32 v5, 0 :: v_dual_lshrrev_b32 v2, 16, v16
	v_mov_b32_e32 v4, 0
	s_mov_b32 s8, exec_lo
	v_and_b32_e32 v17, 0xff, v2
	s_delay_alu instid0(VALU_DEP_1)
	v_cmpx_ne_u16_e32 0, v17
	s_cbranch_execz .LBB0_236
; %bb.227:                              ;   in Loop: Header=BB0_130 Depth=3
	v_bfrev_b32_e32 v4, 1
	s_mov_b32 s21, exec_lo
	v_cmpx_ne_u16_e32 0x80, v17
	s_cbranch_execz .LBB0_235
; %bb.228:                              ;   in Loop: Header=BB0_130 Depth=3
	v_and_b32_e32 v4, 0x7c0000, v16
	v_bfe_u32 v17, v16, 16, 2
	s_delay_alu instid0(VALU_DEP_2) | instskip(SKIP_1) | instid1(SALU_CYCLE_1)
	v_cmp_ne_u32_e32 vcc_lo, 0x7c0000, v4
                                        ; implicit-def: $vgpr4
	s_and_saveexec_b32 s22, vcc_lo
	s_xor_b32 s22, exec_lo, s22
	s_cbranch_execz .LBB0_232
; %bb.229:                              ;   in Loop: Header=BB0_130 Depth=3
	v_bfe_u32 v4, v16, 18, 5
	s_mov_b32 s23, exec_lo
	s_delay_alu instid0(VALU_DEP_1)
	v_cmpx_eq_u32_e32 0, v4
; %bb.230:                              ;   in Loop: Header=BB0_130 Depth=3
	v_clz_i32_u32_e32 v4, v17
	s_delay_alu instid0(VALU_DEP_1) | instskip(NEXT) | instid1(VALU_DEP_1)
	v_min_u32_e32 v4, 32, v4
	v_subrev_nc_u32_e32 v17, 29, v4
	s_delay_alu instid0(VALU_DEP_1) | instskip(NEXT) | instid1(VALU_DEP_1)
	v_lshlrev_b64_e32 v[46:47], v17, v[2:3]
	v_dual_sub_nc_u32 v4, 30, v4 :: v_dual_bitop2_b32 v17, 3, v46 bitop3:0x40
; %bb.231:                              ;   in Loop: Header=BB0_130 Depth=3
	s_or_b32 exec_lo, exec_lo, s23
	v_lshlrev_b32_e32 v2, 24, v2
	s_delay_alu instid0(VALU_DEP_1) | instskip(NEXT) | instid1(VALU_DEP_1)
	v_and_b32_e32 v2, 0x80000000, v2
	v_lshl_add_u32 v2, v4, 23, v2
	s_delay_alu instid0(VALU_DEP_1) | instskip(NEXT) | instid1(VALU_DEP_1)
	v_lshl_or_b32 v2, v17, 21, v2
                                        ; implicit-def: $vgpr17
	v_add_nc_u32_e32 v4, 0x38000000, v2
                                        ; implicit-def: $vgpr2
.LBB0_232:                              ;   in Loop: Header=BB0_130 Depth=3
	s_and_not1_saveexec_b32 s22, s22
; %bb.233:                              ;   in Loop: Header=BB0_130 Depth=3
	v_bfe_i32 v2, v2, 0, 8
	s_delay_alu instid0(VALU_DEP_1) | instskip(SKIP_2) | instid1(VALU_DEP_2)
	v_cmp_lt_i16_e32 vcc_lo, -1, v2
	v_cndmask_b32_e32 v2, 0xff800000, v21, vcc_lo
	v_cmp_eq_u32_e32 vcc_lo, 0, v17
	v_cndmask_b32_e32 v4, 0x7f800001, v2, vcc_lo
; %bb.234:                              ;   in Loop: Header=BB0_130 Depth=3
	s_or_b32 exec_lo, exec_lo, s22
.LBB0_235:                              ;   in Loop: Header=BB0_130 Depth=3
	s_delay_alu instid0(SALU_CYCLE_1)
	s_or_b32 exec_lo, exec_lo, s21
.LBB0_236:                              ;   in Loop: Header=BB0_130 Depth=3
	s_delay_alu instid0(SALU_CYCLE_1) | instskip(SKIP_2) | instid1(VALU_DEP_1)
	s_or_b32 exec_lo, exec_lo, s8
	v_lshrrev_b32_e32 v2, 16, v54
	s_mov_b32 s8, exec_lo
	v_and_b32_e32 v17, 0xff, v2
	s_delay_alu instid0(VALU_DEP_1)
	v_cmpx_ne_u16_e32 0, v17
	s_cbranch_execz .LBB0_246
; %bb.237:                              ;   in Loop: Header=BB0_130 Depth=3
	v_bfrev_b32_e32 v5, 1
	s_mov_b32 s21, exec_lo
	v_cmpx_ne_u16_e32 0x80, v17
	s_cbranch_execz .LBB0_245
; %bb.238:                              ;   in Loop: Header=BB0_130 Depth=3
	v_and_b32_e32 v5, 0x7c0000, v54
	v_bfe_u32 v17, v54, 16, 2
	s_delay_alu instid0(VALU_DEP_2) | instskip(SKIP_1) | instid1(SALU_CYCLE_1)
	v_cmp_ne_u32_e32 vcc_lo, 0x7c0000, v5
                                        ; implicit-def: $vgpr5
	s_and_saveexec_b32 s22, vcc_lo
	s_xor_b32 s22, exec_lo, s22
	s_cbranch_execz .LBB0_242
; %bb.239:                              ;   in Loop: Header=BB0_130 Depth=3
	v_bfe_u32 v5, v54, 18, 5
	v_lshrrev_b32_e32 v2, 16, v54
	s_mov_b32 s23, exec_lo
	s_delay_alu instid0(VALU_DEP_2)
	v_cmpx_eq_u32_e32 0, v5
; %bb.240:                              ;   in Loop: Header=BB0_130 Depth=3
	v_clz_i32_u32_e32 v5, v17
	s_delay_alu instid0(VALU_DEP_1) | instskip(NEXT) | instid1(VALU_DEP_1)
	v_min_u32_e32 v5, 32, v5
	v_subrev_nc_u32_e32 v17, 29, v5
	s_delay_alu instid0(VALU_DEP_1) | instskip(NEXT) | instid1(VALU_DEP_1)
	v_lshlrev_b64_e32 v[46:47], v17, v[2:3]
	v_dual_sub_nc_u32 v5, 30, v5 :: v_dual_bitop2_b32 v17, 3, v46 bitop3:0x40
; %bb.241:                              ;   in Loop: Header=BB0_130 Depth=3
	s_or_b32 exec_lo, exec_lo, s23
	v_lshlrev_b32_e32 v2, 24, v2
	s_delay_alu instid0(VALU_DEP_1) | instskip(NEXT) | instid1(VALU_DEP_1)
	v_and_b32_e32 v2, 0x80000000, v2
	v_lshl_add_u32 v2, v5, 23, v2
	s_delay_alu instid0(VALU_DEP_1) | instskip(NEXT) | instid1(VALU_DEP_1)
	v_lshl_or_b32 v2, v17, 21, v2
                                        ; implicit-def: $vgpr17
	v_add_nc_u32_e32 v5, 0x38000000, v2
                                        ; implicit-def: $vgpr2
.LBB0_242:                              ;   in Loop: Header=BB0_130 Depth=3
	s_and_not1_saveexec_b32 s22, s22
; %bb.243:                              ;   in Loop: Header=BB0_130 Depth=3
	v_bfe_i32 v2, v2, 0, 8
	s_delay_alu instid0(VALU_DEP_1) | instskip(SKIP_2) | instid1(VALU_DEP_2)
	v_cmp_lt_i16_e32 vcc_lo, -1, v2
	v_cndmask_b32_e32 v2, 0xff800000, v21, vcc_lo
	v_cmp_eq_u32_e32 vcc_lo, 0, v17
	v_cndmask_b32_e32 v5, 0x7f800001, v2, vcc_lo
; %bb.244:                              ;   in Loop: Header=BB0_130 Depth=3
	s_or_b32 exec_lo, exec_lo, s22
.LBB0_245:                              ;   in Loop: Header=BB0_130 Depth=3
	s_delay_alu instid0(SALU_CYCLE_1)
	s_or_b32 exec_lo, exec_lo, s21
.LBB0_246:                              ;   in Loop: Header=BB0_130 Depth=3
	s_delay_alu instid0(SALU_CYCLE_1) | instskip(NEXT) | instid1(VALU_DEP_1)
	s_or_b32 exec_lo, exec_lo, s8
	v_dual_mul_f32 v17, v4, v5 :: v_dual_mov_b32 v47, v55
	s_delay_alu instid0(VALU_DEP_1) | instskip(SKIP_2) | instid1(VALU_DEP_2)
	v_dual_mov_b32 v5, v55 :: v_dual_lshrrev_b32 v2, 24, v17
	v_and_b32_e32 v46, 0x7f800000, v17
	v_and_b32_e32 v4, 0x7fffff, v17
	v_cmp_ne_u64_e32 vcc_lo, 0x7f800000, v[46:47]
                                        ; implicit-def: $vgpr46
	s_and_saveexec_b32 s8, vcc_lo
	s_delay_alu instid0(SALU_CYCLE_1)
	s_xor_b32 s21, exec_lo, s8
	s_cbranch_execz .LBB0_260
; %bb.247:                              ;   in Loop: Header=BB0_130 Depth=3
	v_and_b32_e32 v46, 0x7fffffff, v17
	v_mov_b32_e32 v47, v55
	v_and_b32_e32 v2, 0x80, v2
	s_delay_alu instid0(VALU_DEP_2) | instskip(SKIP_1) | instid1(SALU_CYCLE_1)
	v_cmp_gt_u64_e32 vcc_lo, 0x47600001, v[46:47]
                                        ; implicit-def: $vgpr46
	s_and_saveexec_b32 s8, vcc_lo
	s_xor_b32 s22, exec_lo, s8
	s_cbranch_execz .LBB0_257
; %bb.248:                              ;   in Loop: Header=BB0_130 Depth=3
	v_mov_b32_e32 v46, 0
	s_mov_b32 s23, exec_lo
	v_cmpx_ne_u32_e32 0, v17
	s_cbranch_execz .LBB0_256
; %bb.249:                              ;   in Loop: Header=BB0_130 Depth=3
	v_bfe_u32 v17, v17, 23, 8
	v_or_b32_e32 v78, 0x800000, v4
	s_delay_alu instid0(VALU_DEP_2) | instskip(SKIP_1) | instid1(VALU_DEP_2)
	v_sub_nc_u32_e32 v46, 0x71, v17
	v_cmp_gt_u32_e32 vcc_lo, 0x72, v17
	v_cndmask_b32_e32 v46, 0, v46, vcc_lo
	v_cmp_eq_u32_e32 vcc_lo, 0, v17
	s_delay_alu instid0(VALU_DEP_2) | instskip(NEXT) | instid1(VALU_DEP_1)
	v_cndmask_b32_e64 v77, v46, 0x70, vcc_lo
	v_dual_cndmask_b32 v4, v78, v4, vcc_lo :: v_dual_add_nc_u32 v46, 21, v77
	v_add_nc_u32_e32 v79, 20, v77
	s_delay_alu instid0(VALU_DEP_2) | instskip(NEXT) | instid1(VALU_DEP_2)
	v_lshlrev_b64_e64 v[46:47], v46, -1
	v_lshlrev_b64_e64 v[78:79], v79, 1
	s_delay_alu instid0(VALU_DEP_2) | instskip(SKIP_1) | instid1(VALU_DEP_4)
	v_bfi_b32 v46, v46, 0, v4
	v_lshrrev_b64 v[4:5], v77, v[4:5]
	v_bfi_b32 v47, v47, 0, 0
	s_delay_alu instid0(VALU_DEP_1) | instskip(NEXT) | instid1(VALU_DEP_3)
	v_cmp_eq_u64_e64 s8, v[46:47], v[78:79]
	v_mov_b64_e32 v[46:47], v[4:5]
	s_and_saveexec_b32 s24, s8
; %bb.250:                              ;   in Loop: Header=BB0_130 Depth=3
	v_bfe_u32 v46, v4, 21, 1
	v_mov_b32_e32 v47, v55
	s_delay_alu instid0(VALU_DEP_1) | instskip(NEXT) | instid1(VALU_DEP_1)
	v_add_nc_u64_e32 v[46:47], v[4:5], v[46:47]
	v_add_nc_u64_e32 v[46:47], -1, v[46:47]
; %bb.251:                              ;   in Loop: Header=BB0_130 Depth=3
	s_or_b32 exec_lo, exec_lo, s24
	v_add_nc_u32_e32 v5, 0xffffff81, v17
	v_lshrrev_b32_e32 v17, 23, v4
	s_mov_b32 s8, exec_lo
	s_delay_alu instid0(VALU_DEP_2) | instskip(NEXT) | instid1(VALU_DEP_1)
	v_cndmask_b32_e64 v5, v5, 0xffffff82, vcc_lo
	v_add3_u32 v47, v77, v5, v17
	v_and_b32_e32 v5, 0x1fffff, v46
                                        ; implicit-def: $vgpr17
	s_delay_alu instid0(VALU_DEP_1) | instskip(SKIP_1) | instid1(VALU_DEP_2)
	v_dual_add_nc_u32 v46, 14, v47 :: v_dual_add_nc_u32 v4, v5, v4
	v_mov_b32_e32 v5, v55
	v_cmpx_ne_u32_e32 0, v46
	s_xor_b32 s8, exec_lo, s8
; %bb.252:                              ;   in Loop: Header=BB0_130 Depth=3
	s_delay_alu instid0(VALU_DEP_2) | instskip(SKIP_1) | instid1(VALU_DEP_1)
	v_cmp_lt_u64_e32 vcc_lo, 0xffffff, v[4:5]
	v_add_nc_u32_e32 v17, 15, v47
	v_cndmask_b32_e32 v17, v46, v17, vcc_lo
	v_cndmask_b32_e64 v46, 0, 1, vcc_lo
	s_delay_alu instid0(VALU_DEP_1)
	v_lshrrev_b64 v[4:5], v46, v[4:5]
; %bb.253:                              ;   in Loop: Header=BB0_130 Depth=3
	s_and_not1_saveexec_b32 s8, s8
; %bb.254:                              ;   in Loop: Header=BB0_130 Depth=3
	s_delay_alu instid0(VALU_DEP_1)
	v_bfe_u32 v17, v4, 23, 1
; %bb.255:                              ;   in Loop: Header=BB0_130 Depth=3
	s_or_b32 exec_lo, exec_lo, s8
	s_delay_alu instid0(VALU_DEP_2) | instskip(NEXT) | instid1(VALU_DEP_2)
	v_lshrrev_b64 v[4:5], 21, v[4:5]
	v_cmp_gt_i32_e32 vcc_lo, 32, v17
	v_min_i32_e32 v46, 31, v17
	v_cmp_eq_u32_e64 s8, 0, v17
	s_delay_alu instid0(VALU_DEP_2) | instskip(SKIP_1) | instid1(VALU_DEP_2)
	v_dual_cndmask_b32 v4, 3, v4, vcc_lo :: v_dual_lshlrev_b32 v46, 2, v46
	v_cndmask_b32_e32 v5, 0, v5, vcc_lo
	v_and_b32_e32 v46, 0xfc, v46
	s_delay_alu instid0(VALU_DEP_2) | instskip(NEXT) | instid1(VALU_DEP_2)
	v_cmp_eq_u64_e32 vcc_lo, 0, v[4:5]
	v_and_or_b32 v4, v4, 3, v46
	s_and_b32 s8, s8, vcc_lo
	s_delay_alu instid0(VALU_DEP_1) | instid1(SALU_CYCLE_1)
	v_cndmask_b32_e64 v4, v4, 0, s8
	s_delay_alu instid0(VALU_DEP_1)
	v_or_b32_e32 v46, v4, v2
.LBB0_256:                              ;   in Loop: Header=BB0_130 Depth=3
	s_or_b32 exec_lo, exec_lo, s23
                                        ; implicit-def: $vgpr2
.LBB0_257:                              ;   in Loop: Header=BB0_130 Depth=3
	s_and_not1_saveexec_b32 s8, s22
; %bb.258:                              ;   in Loop: Header=BB0_130 Depth=3
	v_or_b32_e32 v46, 0x7b, v2
; %bb.259:                              ;   in Loop: Header=BB0_130 Depth=3
	s_or_b32 exec_lo, exec_lo, s8
                                        ; implicit-def: $vgpr17
                                        ; implicit-def: $vgpr4_vgpr5
                                        ; implicit-def: $vgpr2
.LBB0_260:                              ;   in Loop: Header=BB0_130 Depth=3
	s_and_not1_saveexec_b32 s8, s21
	s_cbranch_execz .LBB0_266
; %bb.261:                              ;   in Loop: Header=BB0_130 Depth=3
	s_mov_b32 s21, exec_lo
                                        ; implicit-def: $vgpr46
	v_cmpx_ne_u64_e32 0, v[4:5]
	s_xor_b32 s21, exec_lo, s21
; %bb.262:                              ;   in Loop: Header=BB0_130 Depth=3
	v_or_b32_e32 v46, 0x7f, v2
                                        ; implicit-def: $vgpr17
; %bb.263:                              ;   in Loop: Header=BB0_130 Depth=3
	s_and_not1_saveexec_b32 s21, s21
; %bb.264:                              ;   in Loop: Header=BB0_130 Depth=3
	v_cmp_lt_i32_e32 vcc_lo, -1, v17
	v_cndmask_b32_e32 v46, 0xfc, v58, vcc_lo
; %bb.265:                              ;   in Loop: Header=BB0_130 Depth=3
	s_or_b32 exec_lo, exec_lo, s21
.LBB0_266:                              ;   in Loop: Header=BB0_130 Depth=3
	s_delay_alu instid0(SALU_CYCLE_1)
	s_or_b32 exec_lo, exec_lo, s8
	v_dual_mov_b32 v4, 0 :: v_dual_mov_b32 v5, 0
	s_mov_b32 s8, exec_lo
	v_cmpx_lt_u32_e32 0xffffff, v16
	s_cbranch_execz .LBB0_276
; %bb.267:                              ;   in Loop: Header=BB0_130 Depth=3
	v_lshrrev_b32_e32 v2, 24, v16
	v_bfrev_b32_e32 v5, 1
	s_mov_b32 s21, exec_lo
	s_delay_alu instid0(VALU_DEP_2)
	v_cmpx_ne_u32_e32 0x80, v2
	s_cbranch_execz .LBB0_275
; %bb.268:                              ;   in Loop: Header=BB0_130 Depth=3
	v_and_b32_e32 v5, 0x7c000000, v16
	v_bfe_u32 v17, v16, 24, 2
	s_delay_alu instid0(VALU_DEP_2) | instskip(SKIP_1) | instid1(SALU_CYCLE_1)
	v_cmp_ne_u32_e32 vcc_lo, 0x7c000000, v5
                                        ; implicit-def: $vgpr5
	s_and_saveexec_b32 s22, vcc_lo
	s_xor_b32 s22, exec_lo, s22
	s_cbranch_execz .LBB0_272
; %bb.269:                              ;   in Loop: Header=BB0_130 Depth=3
	v_bfe_u32 v5, v16, 26, 5
	s_mov_b32 s23, exec_lo
	s_delay_alu instid0(VALU_DEP_1)
	v_cmpx_eq_u32_e32 0, v5
; %bb.270:                              ;   in Loop: Header=BB0_130 Depth=3
	v_clz_i32_u32_e32 v5, v17
	s_delay_alu instid0(VALU_DEP_1) | instskip(NEXT) | instid1(VALU_DEP_1)
	v_min_u32_e32 v5, 32, v5
	v_subrev_nc_u32_e32 v17, 29, v5
	s_delay_alu instid0(VALU_DEP_1) | instskip(NEXT) | instid1(VALU_DEP_1)
	v_lshlrev_b64_e32 v[78:79], v17, v[2:3]
	v_dual_sub_nc_u32 v5, 30, v5 :: v_dual_bitop2_b32 v17, 3, v78 bitop3:0x40
; %bb.271:                              ;   in Loop: Header=BB0_130 Depth=3
	s_or_b32 exec_lo, exec_lo, s23
	v_and_b32_e32 v2, 0x80000000, v16
	s_delay_alu instid0(VALU_DEP_1) | instskip(NEXT) | instid1(VALU_DEP_1)
	v_lshl_add_u32 v2, v5, 23, v2
	v_lshl_or_b32 v2, v17, 21, v2
                                        ; implicit-def: $vgpr17
	s_delay_alu instid0(VALU_DEP_1)
	v_add_nc_u32_e32 v5, 0x38000000, v2
.LBB0_272:                              ;   in Loop: Header=BB0_130 Depth=3
	s_and_not1_saveexec_b32 s22, s22
; %bb.273:                              ;   in Loop: Header=BB0_130 Depth=3
	v_cmp_lt_i32_e32 vcc_lo, -1, v16
	v_cndmask_b32_e32 v2, 0xff800000, v21, vcc_lo
	v_cmp_eq_u32_e32 vcc_lo, 0, v17
	s_delay_alu instid0(VALU_DEP_2)
	v_cndmask_b32_e32 v5, 0x7f800001, v2, vcc_lo
; %bb.274:                              ;   in Loop: Header=BB0_130 Depth=3
	s_or_b32 exec_lo, exec_lo, s22
.LBB0_275:                              ;   in Loop: Header=BB0_130 Depth=3
	s_delay_alu instid0(SALU_CYCLE_1)
	s_or_b32 exec_lo, exec_lo, s21
.LBB0_276:                              ;   in Loop: Header=BB0_130 Depth=3
	s_delay_alu instid0(SALU_CYCLE_1) | instskip(NEXT) | instid1(SALU_CYCLE_1)
	s_or_b32 exec_lo, exec_lo, s8
	s_mov_b32 s8, exec_lo
	v_cmpx_lt_u32_e32 0xffffff, v54
	s_cbranch_execz .LBB0_286
; %bb.277:                              ;   in Loop: Header=BB0_130 Depth=3
	v_lshrrev_b32_e32 v2, 24, v54
	v_bfrev_b32_e32 v4, 1
	s_mov_b32 s21, exec_lo
	s_delay_alu instid0(VALU_DEP_2)
	v_cmpx_ne_u32_e32 0x80, v2
	s_cbranch_execz .LBB0_285
; %bb.278:                              ;   in Loop: Header=BB0_130 Depth=3
	v_and_b32_e32 v4, 0x7c000000, v54
	v_bfe_u32 v16, v54, 24, 2
	s_delay_alu instid0(VALU_DEP_2) | instskip(SKIP_1) | instid1(SALU_CYCLE_1)
	v_cmp_ne_u32_e32 vcc_lo, 0x7c000000, v4
                                        ; implicit-def: $vgpr4
	s_and_saveexec_b32 s22, vcc_lo
	s_xor_b32 s22, exec_lo, s22
	s_cbranch_execz .LBB0_282
; %bb.279:                              ;   in Loop: Header=BB0_130 Depth=3
	v_bfe_u32 v4, v54, 26, 5
	s_mov_b32 s23, exec_lo
	s_delay_alu instid0(VALU_DEP_1)
	v_cmpx_eq_u32_e32 0, v4
; %bb.280:                              ;   in Loop: Header=BB0_130 Depth=3
	v_clz_i32_u32_e32 v4, v16
	s_delay_alu instid0(VALU_DEP_1) | instskip(NEXT) | instid1(VALU_DEP_1)
	v_min_u32_e32 v4, 32, v4
	v_subrev_nc_u32_e32 v16, 29, v4
	v_sub_nc_u32_e32 v4, 30, v4
	s_delay_alu instid0(VALU_DEP_2) | instskip(NEXT) | instid1(VALU_DEP_1)
	v_lshlrev_b64_e32 v[16:17], v16, v[2:3]
	v_and_b32_e32 v16, 3, v16
; %bb.281:                              ;   in Loop: Header=BB0_130 Depth=3
	s_or_b32 exec_lo, exec_lo, s23
	v_and_b32_e32 v2, 0x80000000, v54
	s_delay_alu instid0(VALU_DEP_1) | instskip(NEXT) | instid1(VALU_DEP_1)
	v_lshl_add_u32 v2, v4, 23, v2
	v_lshl_or_b32 v2, v16, 21, v2
                                        ; implicit-def: $vgpr16
	s_delay_alu instid0(VALU_DEP_1)
	v_add_nc_u32_e32 v4, 0x38000000, v2
.LBB0_282:                              ;   in Loop: Header=BB0_130 Depth=3
	s_and_not1_saveexec_b32 s22, s22
; %bb.283:                              ;   in Loop: Header=BB0_130 Depth=3
	v_cmp_lt_i32_e32 vcc_lo, -1, v54
	v_cndmask_b32_e32 v2, 0xff800000, v21, vcc_lo
	v_cmp_eq_u32_e32 vcc_lo, 0, v16
	s_delay_alu instid0(VALU_DEP_2)
	v_cndmask_b32_e32 v4, 0x7f800001, v2, vcc_lo
; %bb.284:                              ;   in Loop: Header=BB0_130 Depth=3
	s_or_b32 exec_lo, exec_lo, s22
.LBB0_285:                              ;   in Loop: Header=BB0_130 Depth=3
	s_delay_alu instid0(SALU_CYCLE_1)
	s_or_b32 exec_lo, exec_lo, s21
.LBB0_286:                              ;   in Loop: Header=BB0_130 Depth=3
	s_delay_alu instid0(SALU_CYCLE_1) | instskip(NEXT) | instid1(VALU_DEP_1)
	s_or_b32 exec_lo, exec_lo, s8
	v_dual_mul_f32 v4, v5, v4 :: v_dual_mov_b32 v17, v55
                                        ; implicit-def: $vgpr47
	s_mov_b32 s8, exec_lo
	s_delay_alu instid0(VALU_DEP_1) | instskip(SKIP_2) | instid1(VALU_DEP_3)
	v_and_b32_e32 v16, 0x7f800000, v4
	v_and_b32_e32 v54, 0x7fffff, v4
	v_lshrrev_b32_e32 v2, 24, v4
	v_cmpx_ne_u64_e32 0x7f800000, v[16:17]
	s_xor_b32 s21, exec_lo, s8
	s_cbranch_execz .LBB0_300
; %bb.287:                              ;   in Loop: Header=BB0_130 Depth=3
	v_and_b32_e32 v16, 0x7fffffff, v4
	v_mov_b32_e32 v17, v55
	v_and_b32_e32 v2, 0x80, v2
                                        ; implicit-def: $vgpr47
	s_mov_b32 s8, exec_lo
	s_delay_alu instid0(VALU_DEP_2)
	v_cmpx_gt_u64_e32 0x47600001, v[16:17]
	s_xor_b32 s22, exec_lo, s8
	s_cbranch_execz .LBB0_297
; %bb.288:                              ;   in Loop: Header=BB0_130 Depth=3
	v_mov_b32_e32 v47, 0
	s_mov_b32 s23, exec_lo
	v_cmpx_ne_u32_e32 0, v4
	s_cbranch_execz .LBB0_296
; %bb.289:                              ;   in Loop: Header=BB0_130 Depth=3
	v_bfe_u32 v47, v4, 23, 8
	v_or_b32_e32 v16, 0x800000, v54
	s_delay_alu instid0(VALU_DEP_2) | instskip(SKIP_1) | instid1(VALU_DEP_2)
	v_sub_nc_u32_e32 v4, 0x71, v47
	v_cmp_gt_u32_e32 vcc_lo, 0x72, v47
	v_cndmask_b32_e32 v4, 0, v4, vcc_lo
	v_cmp_eq_u32_e32 vcc_lo, 0, v47
	s_delay_alu instid0(VALU_DEP_2) | instskip(NEXT) | instid1(VALU_DEP_1)
	v_cndmask_b32_e64 v77, v4, 0x70, vcc_lo
	v_dual_cndmask_b32 v54, v16, v54, vcc_lo :: v_dual_add_nc_u32 v4, 21, v77
	v_add_nc_u32_e32 v17, 20, v77
	s_delay_alu instid0(VALU_DEP_2) | instskip(NEXT) | instid1(VALU_DEP_2)
	v_lshlrev_b64_e64 v[4:5], v4, -1
	v_lshlrev_b64_e64 v[16:17], v17, 1
	s_delay_alu instid0(VALU_DEP_2) | instskip(NEXT) | instid1(VALU_DEP_3)
	v_bfi_b32 v79, v5, 0, 0
	v_bfi_b32 v78, v4, 0, v54
	v_lshrrev_b64 v[4:5], v77, v[54:55]
	s_delay_alu instid0(VALU_DEP_2) | instskip(NEXT) | instid1(VALU_DEP_2)
	v_cmp_eq_u64_e64 s8, v[78:79], v[16:17]
	v_mov_b64_e32 v[16:17], v[4:5]
	s_and_saveexec_b32 s24, s8
; %bb.290:                              ;   in Loop: Header=BB0_130 Depth=3
	v_bfe_u32 v54, v4, 21, 1
	s_delay_alu instid0(VALU_DEP_1) | instskip(NEXT) | instid1(VALU_DEP_1)
	v_add_nc_u64_e32 v[16:17], v[4:5], v[54:55]
	v_add_nc_u64_e32 v[16:17], -1, v[16:17]
; %bb.291:                              ;   in Loop: Header=BB0_130 Depth=3
	s_or_b32 exec_lo, exec_lo, s24
	v_add_nc_u32_e32 v5, 0xffffff81, v47
	v_lshrrev_b32_e32 v17, 23, v4
	s_mov_b32 s8, exec_lo
	s_delay_alu instid0(VALU_DEP_2) | instskip(NEXT) | instid1(VALU_DEP_1)
	v_cndmask_b32_e64 v5, v5, 0xffffff82, vcc_lo
	v_add3_u32 v17, v77, v5, v17
	v_and_b32_e32 v5, 0x1fffff, v16
                                        ; implicit-def: $vgpr16
	s_delay_alu instid0(VALU_DEP_1) | instskip(NEXT) | instid1(VALU_DEP_1)
	v_dual_add_nc_u32 v47, 14, v17 :: v_dual_add_nc_u32 v54, v5, v4
                                        ; implicit-def: $vgpr4_vgpr5
	v_cmpx_ne_u32_e32 0, v47
	s_xor_b32 s8, exec_lo, s8
; %bb.292:                              ;   in Loop: Header=BB0_130 Depth=3
	s_delay_alu instid0(VALU_DEP_2) | instskip(SKIP_1) | instid1(VALU_DEP_1)
	v_cmp_lt_u64_e32 vcc_lo, 0xffffff, v[54:55]
	v_add_nc_u32_e32 v4, 15, v17
	v_cndmask_b32_e32 v16, v47, v4, vcc_lo
	v_cndmask_b32_e64 v4, 0, 1, vcc_lo
	s_delay_alu instid0(VALU_DEP_1)
	v_lshrrev_b64 v[4:5], v4, v[54:55]
; %bb.293:                              ;   in Loop: Header=BB0_130 Depth=3
	s_and_not1_saveexec_b32 s8, s8
; %bb.294:                              ;   in Loop: Header=BB0_130 Depth=3
	v_mov_b64_e32 v[4:5], v[54:55]
	v_bfe_u32 v16, v54, 23, 1
; %bb.295:                              ;   in Loop: Header=BB0_130 Depth=3
	s_or_b32 exec_lo, exec_lo, s8
	s_delay_alu instid0(VALU_DEP_2) | instskip(NEXT) | instid1(VALU_DEP_2)
	v_lshrrev_b64 v[4:5], 21, v[4:5]
	v_cmp_gt_i32_e32 vcc_lo, 32, v16
	v_min_i32_e32 v17, 31, v16
	v_cmp_eq_u32_e64 s8, 0, v16
	s_delay_alu instid0(VALU_DEP_4) | instskip(NEXT) | instid1(VALU_DEP_3)
	v_cndmask_b32_e32 v5, 0, v5, vcc_lo
	v_dual_cndmask_b32 v4, 3, v4 :: v_dual_lshlrev_b32 v17, 2, v17
	s_delay_alu instid0(VALU_DEP_1) | instskip(NEXT) | instid1(VALU_DEP_2)
	v_and_b32_e32 v17, 0xfc, v17
	v_cmp_eq_u64_e32 vcc_lo, 0, v[4:5]
	s_delay_alu instid0(VALU_DEP_2)
	v_and_or_b32 v4, v4, 3, v17
	s_and_b32 s8, s8, vcc_lo
	s_delay_alu instid0(VALU_DEP_1) | instid1(SALU_CYCLE_1)
	v_cndmask_b32_e64 v4, v4, 0, s8
	s_delay_alu instid0(VALU_DEP_1)
	v_or_b32_e32 v47, v4, v2
.LBB0_296:                              ;   in Loop: Header=BB0_130 Depth=3
	s_or_b32 exec_lo, exec_lo, s23
                                        ; implicit-def: $vgpr2
.LBB0_297:                              ;   in Loop: Header=BB0_130 Depth=3
	s_and_not1_saveexec_b32 s8, s22
; %bb.298:                              ;   in Loop: Header=BB0_130 Depth=3
	v_or_b32_e32 v47, 0x7b, v2
; %bb.299:                              ;   in Loop: Header=BB0_130 Depth=3
	s_or_b32 exec_lo, exec_lo, s8
                                        ; implicit-def: $vgpr4
                                        ; implicit-def: $vgpr2
.LBB0_300:                              ;   in Loop: Header=BB0_130 Depth=3
	s_and_not1_saveexec_b32 s8, s21
	s_cbranch_execz .LBB0_306
; %bb.301:                              ;   in Loop: Header=BB0_130 Depth=3
	s_mov_b32 s21, exec_lo
                                        ; implicit-def: $vgpr47
	v_cmpx_ne_u64_e32 0, v[54:55]
	s_xor_b32 s21, exec_lo, s21
; %bb.302:                              ;   in Loop: Header=BB0_130 Depth=3
	v_or_b32_e32 v47, 0x7f, v2
                                        ; implicit-def: $vgpr4
; %bb.303:                              ;   in Loop: Header=BB0_130 Depth=3
	s_and_not1_saveexec_b32 s21, s21
; %bb.304:                              ;   in Loop: Header=BB0_130 Depth=3
	v_cmp_lt_i32_e32 vcc_lo, -1, v4
	v_cndmask_b32_e32 v47, 0xfc, v58, vcc_lo
; %bb.305:                              ;   in Loop: Header=BB0_130 Depth=3
	s_or_b32 exec_lo, exec_lo, s21
.LBB0_306:                              ;   in Loop: Header=BB0_130 Depth=3
	s_delay_alu instid0(SALU_CYCLE_1) | instskip(SKIP_2) | instid1(VALU_DEP_2)
	s_or_b32 exec_lo, exec_lo, s8
	v_and_b32_e32 v4, 0xff, v18
	v_mov_b32_e32 v2, 0
	v_cmp_ne_u16_e32 vcc_lo, 0, v4
	v_mov_b32_e32 v4, 0
	s_and_saveexec_b32 s8, vcc_lo
	s_cbranch_execz .LBB0_316
; %bb.307:                              ;   in Loop: Header=BB0_130 Depth=3
	v_bfe_i32 v16, v18, 0, 8
	v_bfrev_b32_e32 v4, 1
	s_mov_b32 s21, exec_lo
	s_delay_alu instid0(VALU_DEP_2)
	v_cmpx_ne_u16_e32 0xff80, v16
	s_cbranch_execz .LBB0_315
; %bb.308:                              ;   in Loop: Header=BB0_130 Depth=3
	v_and_b32_e32 v4, 0x7c, v18
	v_and_b32_e32 v5, 3, v18
	s_delay_alu instid0(VALU_DEP_2) | instskip(SKIP_1) | instid1(SALU_CYCLE_1)
	v_cmp_ne_u32_e32 vcc_lo, 0x7c, v4
                                        ; implicit-def: $vgpr4
	s_and_saveexec_b32 s22, vcc_lo
	s_xor_b32 s22, exec_lo, s22
	s_cbranch_execz .LBB0_312
; %bb.309:                              ;   in Loop: Header=BB0_130 Depth=3
	v_bfe_u32 v4, v18, 2, 5
	s_mov_b32 s23, exec_lo
	s_delay_alu instid0(VALU_DEP_1)
	v_cmpx_eq_u32_e32 0, v4
; %bb.310:                              ;   in Loop: Header=BB0_130 Depth=3
	v_clz_i32_u32_e32 v4, v5
	s_delay_alu instid0(VALU_DEP_1) | instskip(NEXT) | instid1(VALU_DEP_1)
	v_min_u32_e32 v4, 32, v4
	v_subrev_nc_u32_e32 v5, 29, v4
	v_sub_nc_u32_e32 v4, 30, v4
	s_delay_alu instid0(VALU_DEP_2) | instskip(NEXT) | instid1(VALU_DEP_1)
	v_lshlrev_b64_e32 v[16:17], v5, v[18:19]
	v_and_b32_e32 v5, 3, v16
; %bb.311:                              ;   in Loop: Header=BB0_130 Depth=3
	s_or_b32 exec_lo, exec_lo, s23
	v_lshlrev_b32_e32 v16, 24, v18
	s_delay_alu instid0(VALU_DEP_1) | instskip(NEXT) | instid1(VALU_DEP_1)
	v_and_b32_e32 v16, 0x80000000, v16
	v_lshl_add_u32 v4, v4, 23, v16
                                        ; implicit-def: $vgpr16
	s_delay_alu instid0(VALU_DEP_1) | instskip(NEXT) | instid1(VALU_DEP_1)
	v_lshl_or_b32 v4, v5, 21, v4
                                        ; implicit-def: $vgpr5
	v_add_nc_u32_e32 v4, 0x38000000, v4
.LBB0_312:                              ;   in Loop: Header=BB0_130 Depth=3
	s_and_not1_saveexec_b32 s22, s22
; %bb.313:                              ;   in Loop: Header=BB0_130 Depth=3
	v_cmp_lt_i16_e32 vcc_lo, -1, v16
	v_cndmask_b32_e32 v4, 0xff800000, v21, vcc_lo
	v_cmp_eq_u32_e32 vcc_lo, 0, v5
	s_delay_alu instid0(VALU_DEP_2)
	v_cndmask_b32_e32 v4, 0x7f800001, v4, vcc_lo
; %bb.314:                              ;   in Loop: Header=BB0_130 Depth=3
	s_or_b32 exec_lo, exec_lo, s22
.LBB0_315:                              ;   in Loop: Header=BB0_130 Depth=3
	s_delay_alu instid0(SALU_CYCLE_1)
	s_or_b32 exec_lo, exec_lo, s21
.LBB0_316:                              ;   in Loop: Header=BB0_130 Depth=3
	s_delay_alu instid0(SALU_CYCLE_1) | instskip(SKIP_2) | instid1(VALU_DEP_1)
	s_or_b32 exec_lo, exec_lo, s8
	v_alignbit_b32 v54, v74, v75, v76
	s_mov_b32 s8, exec_lo
	v_and_b32_e32 v5, 0xff, v54
	s_delay_alu instid0(VALU_DEP_1)
	v_cmpx_ne_u16_e32 0, v5
	s_cbranch_execz .LBB0_326
; %bb.317:                              ;   in Loop: Header=BB0_130 Depth=3
	v_bfe_i32 v16, v54, 0, 8
	v_bfrev_b32_e32 v2, 1
	s_mov_b32 s21, exec_lo
	s_delay_alu instid0(VALU_DEP_2)
	v_cmpx_ne_u16_e32 0xff80, v16
	s_cbranch_execz .LBB0_325
; %bb.318:                              ;   in Loop: Header=BB0_130 Depth=3
	v_and_b32_e32 v2, 0x7c, v54
	v_and_b32_e32 v5, 3, v54
	s_delay_alu instid0(VALU_DEP_2) | instskip(SKIP_1) | instid1(SALU_CYCLE_1)
	v_cmp_ne_u32_e32 vcc_lo, 0x7c, v2
                                        ; implicit-def: $vgpr2
	s_and_saveexec_b32 s22, vcc_lo
	s_xor_b32 s22, exec_lo, s22
	s_cbranch_execz .LBB0_322
; %bb.319:                              ;   in Loop: Header=BB0_130 Depth=3
	v_bfe_u32 v2, v54, 2, 5
	s_mov_b32 s23, exec_lo
	s_delay_alu instid0(VALU_DEP_1)
	v_cmpx_eq_u32_e32 0, v2
; %bb.320:                              ;   in Loop: Header=BB0_130 Depth=3
	v_clz_i32_u32_e32 v2, v5
	s_delay_alu instid0(VALU_DEP_1) | instskip(NEXT) | instid1(VALU_DEP_1)
	v_min_u32_e32 v2, 32, v2
	v_subrev_nc_u32_e32 v5, 29, v2
	s_delay_alu instid0(VALU_DEP_1) | instskip(NEXT) | instid1(VALU_DEP_1)
	v_lshlrev_b64_e32 v[16:17], v5, v[54:55]
	v_dual_sub_nc_u32 v2, 30, v2 :: v_dual_bitop2_b32 v5, 3, v16 bitop3:0x40
; %bb.321:                              ;   in Loop: Header=BB0_130 Depth=3
	s_or_b32 exec_lo, exec_lo, s23
	v_lshlrev_b32_e32 v16, 24, v54
	s_delay_alu instid0(VALU_DEP_1) | instskip(NEXT) | instid1(VALU_DEP_1)
	v_and_b32_e32 v16, 0x80000000, v16
	v_lshl_add_u32 v2, v2, 23, v16
                                        ; implicit-def: $vgpr16
	s_delay_alu instid0(VALU_DEP_1) | instskip(NEXT) | instid1(VALU_DEP_1)
	v_lshl_or_b32 v2, v5, 21, v2
                                        ; implicit-def: $vgpr5
	v_add_nc_u32_e32 v2, 0x38000000, v2
.LBB0_322:                              ;   in Loop: Header=BB0_130 Depth=3
	s_and_not1_saveexec_b32 s22, s22
; %bb.323:                              ;   in Loop: Header=BB0_130 Depth=3
	v_cmp_lt_i16_e32 vcc_lo, -1, v16
	v_cndmask_b32_e32 v2, 0xff800000, v21, vcc_lo
	v_cmp_eq_u32_e32 vcc_lo, 0, v5
	s_delay_alu instid0(VALU_DEP_2)
	v_cndmask_b32_e32 v2, 0x7f800001, v2, vcc_lo
; %bb.324:                              ;   in Loop: Header=BB0_130 Depth=3
	s_or_b32 exec_lo, exec_lo, s22
.LBB0_325:                              ;   in Loop: Header=BB0_130 Depth=3
	s_delay_alu instid0(SALU_CYCLE_1)
	s_or_b32 exec_lo, exec_lo, s21
.LBB0_326:                              ;   in Loop: Header=BB0_130 Depth=3
	s_delay_alu instid0(SALU_CYCLE_1) | instskip(NEXT) | instid1(VALU_DEP_1)
	s_or_b32 exec_lo, exec_lo, s8
	v_dual_mul_f32 v16, v4, v2 :: v_dual_mov_b32 v75, v55
	v_mov_b32_e32 v5, v55
                                        ; implicit-def: $vgpr19
	s_mov_b32 s8, exec_lo
	s_delay_alu instid0(VALU_DEP_2) | instskip(SKIP_2) | instid1(VALU_DEP_3)
	v_and_b32_e32 v74, 0x7f800000, v16
	v_and_b32_e32 v4, 0x7fffff, v16
	v_lshrrev_b32_e32 v2, 24, v16
	v_cmpx_ne_u64_e32 0x7f800000, v[74:75]
	s_xor_b32 s21, exec_lo, s8
	s_cbranch_execz .LBB0_340
; %bb.327:                              ;   in Loop: Header=BB0_130 Depth=3
	v_and_b32_e32 v74, 0x7fffffff, v16
	v_mov_b32_e32 v75, v55
	v_and_b32_e32 v2, 0x80, v2
                                        ; implicit-def: $vgpr19
	s_mov_b32 s8, exec_lo
	s_delay_alu instid0(VALU_DEP_2)
	v_cmpx_gt_u64_e32 0x47600001, v[74:75]
	s_xor_b32 s22, exec_lo, s8
	s_cbranch_execz .LBB0_337
; %bb.328:                              ;   in Loop: Header=BB0_130 Depth=3
	v_mov_b32_e32 v19, 0
	s_mov_b32 s23, exec_lo
	v_cmpx_ne_u32_e32 0, v16
	s_cbranch_execz .LBB0_336
; %bb.329:                              ;   in Loop: Header=BB0_130 Depth=3
	v_bfe_u32 v19, v16, 23, 8
	v_or_b32_e32 v75, 0x800000, v4
	s_delay_alu instid0(VALU_DEP_2) | instskip(SKIP_1) | instid1(VALU_DEP_2)
	v_sub_nc_u32_e32 v16, 0x71, v19
	v_cmp_gt_u32_e32 vcc_lo, 0x72, v19
	v_cndmask_b32_e32 v16, 0, v16, vcc_lo
	v_cmp_eq_u32_e32 vcc_lo, 0, v19
	s_delay_alu instid0(VALU_DEP_2) | instskip(NEXT) | instid1(VALU_DEP_1)
	v_cndmask_b32_e64 v74, v16, 0x70, vcc_lo
	v_dual_cndmask_b32 v4, v75, v4, vcc_lo :: v_dual_add_nc_u32 v16, 21, v74
	v_add_nc_u32_e32 v76, 20, v74
	s_delay_alu instid0(VALU_DEP_2) | instskip(NEXT) | instid1(VALU_DEP_2)
	v_lshlrev_b64_e64 v[16:17], v16, -1
	v_lshlrev_b64_e64 v[76:77], v76, 1
	s_delay_alu instid0(VALU_DEP_2) | instskip(SKIP_1) | instid1(VALU_DEP_4)
	v_bfi_b32 v16, v16, 0, v4
	v_lshrrev_b64 v[4:5], v74, v[4:5]
	v_bfi_b32 v17, v17, 0, 0
	s_delay_alu instid0(VALU_DEP_1) | instskip(NEXT) | instid1(VALU_DEP_3)
	v_cmp_eq_u64_e64 s8, v[16:17], v[76:77]
	v_mov_b64_e32 v[16:17], v[4:5]
	s_and_saveexec_b32 s24, s8
; %bb.330:                              ;   in Loop: Header=BB0_130 Depth=3
	v_bfe_u32 v16, v4, 21, 1
	v_mov_b32_e32 v17, v55
	s_delay_alu instid0(VALU_DEP_1) | instskip(NEXT) | instid1(VALU_DEP_1)
	v_add_nc_u64_e32 v[16:17], v[4:5], v[16:17]
	v_add_nc_u64_e32 v[16:17], -1, v[16:17]
; %bb.331:                              ;   in Loop: Header=BB0_130 Depth=3
	s_or_b32 exec_lo, exec_lo, s24
	v_add_nc_u32_e32 v5, 0xffffff81, v19
	v_lshrrev_b32_e32 v17, 23, v4
	s_mov_b32 s8, exec_lo
	s_delay_alu instid0(VALU_DEP_2) | instskip(NEXT) | instid1(VALU_DEP_1)
	v_cndmask_b32_e64 v5, v5, 0xffffff82, vcc_lo
	v_add3_u32 v17, v74, v5, v17
	v_and_b32_e32 v5, 0x1fffff, v16
                                        ; implicit-def: $vgpr16
	s_delay_alu instid0(VALU_DEP_1) | instskip(SKIP_1) | instid1(VALU_DEP_2)
	v_dual_add_nc_u32 v19, 14, v17 :: v_dual_add_nc_u32 v4, v5, v4
	v_mov_b32_e32 v5, v55
	v_cmpx_ne_u32_e32 0, v19
	s_xor_b32 s8, exec_lo, s8
; %bb.332:                              ;   in Loop: Header=BB0_130 Depth=3
	s_delay_alu instid0(VALU_DEP_2) | instskip(SKIP_2) | instid1(VALU_DEP_2)
	v_cmp_lt_u64_e32 vcc_lo, 0xffffff, v[4:5]
	v_add_nc_u32_e32 v16, 15, v17
	v_cndmask_b32_e64 v17, 0, 1, vcc_lo
	v_cndmask_b32_e32 v16, v19, v16, vcc_lo
	s_delay_alu instid0(VALU_DEP_2)
	v_lshrrev_b64 v[4:5], v17, v[4:5]
; %bb.333:                              ;   in Loop: Header=BB0_130 Depth=3
	s_and_not1_saveexec_b32 s8, s8
; %bb.334:                              ;   in Loop: Header=BB0_130 Depth=3
	s_delay_alu instid0(VALU_DEP_1)
	v_bfe_u32 v16, v4, 23, 1
; %bb.335:                              ;   in Loop: Header=BB0_130 Depth=3
	s_or_b32 exec_lo, exec_lo, s8
	s_delay_alu instid0(VALU_DEP_2) | instskip(NEXT) | instid1(VALU_DEP_2)
	v_lshrrev_b64 v[4:5], 21, v[4:5]
	v_cmp_gt_i32_e32 vcc_lo, 32, v16
	v_min_i32_e32 v17, 31, v16
	v_cmp_eq_u32_e64 s8, 0, v16
	s_delay_alu instid0(VALU_DEP_4) | instskip(NEXT) | instid1(VALU_DEP_3)
	v_cndmask_b32_e32 v5, 0, v5, vcc_lo
	v_dual_cndmask_b32 v4, 3, v4 :: v_dual_lshlrev_b32 v17, 2, v17
	s_delay_alu instid0(VALU_DEP_1) | instskip(NEXT) | instid1(VALU_DEP_2)
	v_and_b32_e32 v17, 0xfc, v17
	v_cmp_eq_u64_e32 vcc_lo, 0, v[4:5]
	s_delay_alu instid0(VALU_DEP_2)
	v_and_or_b32 v4, v4, 3, v17
	s_and_b32 s8, s8, vcc_lo
	s_delay_alu instid0(VALU_DEP_1) | instid1(SALU_CYCLE_1)
	v_cndmask_b32_e64 v4, v4, 0, s8
	s_delay_alu instid0(VALU_DEP_1)
	v_or_b32_e32 v19, v4, v2
.LBB0_336:                              ;   in Loop: Header=BB0_130 Depth=3
	s_or_b32 exec_lo, exec_lo, s23
                                        ; implicit-def: $vgpr2
.LBB0_337:                              ;   in Loop: Header=BB0_130 Depth=3
	s_and_not1_saveexec_b32 s8, s22
; %bb.338:                              ;   in Loop: Header=BB0_130 Depth=3
	v_or_b32_e32 v19, 0x7b, v2
; %bb.339:                              ;   in Loop: Header=BB0_130 Depth=3
	s_or_b32 exec_lo, exec_lo, s8
                                        ; implicit-def: $vgpr16
                                        ; implicit-def: $vgpr4_vgpr5
                                        ; implicit-def: $vgpr2
.LBB0_340:                              ;   in Loop: Header=BB0_130 Depth=3
	s_and_not1_saveexec_b32 s8, s21
	s_cbranch_execz .LBB0_346
; %bb.341:                              ;   in Loop: Header=BB0_130 Depth=3
	s_mov_b32 s21, exec_lo
                                        ; implicit-def: $vgpr19
	v_cmpx_ne_u64_e32 0, v[4:5]
	s_xor_b32 s21, exec_lo, s21
; %bb.342:                              ;   in Loop: Header=BB0_130 Depth=3
	v_or_b32_e32 v19, 0x7f, v2
                                        ; implicit-def: $vgpr16
; %bb.343:                              ;   in Loop: Header=BB0_130 Depth=3
	s_and_not1_saveexec_b32 s21, s21
; %bb.344:                              ;   in Loop: Header=BB0_130 Depth=3
	v_cmp_lt_i32_e32 vcc_lo, -1, v16
	v_cndmask_b32_e32 v19, 0xfc, v58, vcc_lo
; %bb.345:                              ;   in Loop: Header=BB0_130 Depth=3
	s_or_b32 exec_lo, exec_lo, s21
.LBB0_346:                              ;   in Loop: Header=BB0_130 Depth=3
	s_delay_alu instid0(SALU_CYCLE_1) | instskip(SKIP_3) | instid1(VALU_DEP_2)
	s_or_b32 exec_lo, exec_lo, s8
	v_lshrrev_b16 v4, 8, v18
	v_dual_mov_b32 v2, 0 :: v_dual_mov_b32 v16, 0
	s_mov_b32 s8, exec_lo
	v_cmpx_ne_u16_e32 0, v4
	s_cbranch_execz .LBB0_356
; %bb.347:                              ;   in Loop: Header=BB0_130 Depth=3
	v_bfrev_b32_e32 v16, 1
	s_mov_b32 s21, exec_lo
	v_cmpx_ne_u16_e32 0x80, v4
	s_cbranch_execz .LBB0_355
; %bb.348:                              ;   in Loop: Header=BB0_130 Depth=3
	v_and_b32_e32 v17, 0xffff, v4
	s_delay_alu instid0(VALU_DEP_1) | instskip(SKIP_1) | instid1(VALU_DEP_2)
	v_and_b32_e32 v16, 0x7c, v17
	v_and_b32_e32 v5, 3, v17
	v_cmp_ne_u32_e32 vcc_lo, 0x7c, v16
                                        ; implicit-def: $vgpr16
	s_and_saveexec_b32 s22, vcc_lo
	s_delay_alu instid0(SALU_CYCLE_1)
	s_xor_b32 s22, exec_lo, s22
	s_cbranch_execz .LBB0_352
; %bb.349:                              ;   in Loop: Header=BB0_130 Depth=3
	v_bfe_u32 v16, v17, 2, 5
	s_mov_b32 s23, exec_lo
	s_delay_alu instid0(VALU_DEP_1)
	v_cmpx_eq_u32_e32 0, v16
	s_cbranch_execz .LBB0_351
; %bb.350:                              ;   in Loop: Header=BB0_130 Depth=3
	v_clz_i32_u32_e32 v5, v5
	s_delay_alu instid0(VALU_DEP_1) | instskip(SKIP_1) | instid1(VALU_DEP_2)
	v_min_u32_e32 v16, 32, v5
	v_mov_b32_e32 v5, v55
	v_subrev_nc_u32_e32 v17, 29, v16
	v_sub_nc_u32_e32 v16, 30, v16
	s_delay_alu instid0(VALU_DEP_2) | instskip(NEXT) | instid1(VALU_DEP_1)
	v_lshlrev_b64_e32 v[4:5], v17, v[4:5]
	v_and_b32_e32 v5, 3, v4
.LBB0_351:                              ;   in Loop: Header=BB0_130 Depth=3
	s_or_b32 exec_lo, exec_lo, s23
	v_lshlrev_b32_e32 v4, 16, v18
	s_delay_alu instid0(VALU_DEP_1) | instskip(NEXT) | instid1(VALU_DEP_1)
	v_and_b32_e32 v4, 0x80000000, v4
	v_lshl_add_u32 v4, v16, 23, v4
	s_delay_alu instid0(VALU_DEP_1) | instskip(NEXT) | instid1(VALU_DEP_1)
	v_lshl_or_b32 v4, v5, 21, v4
                                        ; implicit-def: $vgpr5
	v_add_nc_u32_e32 v16, 0x38000000, v4
.LBB0_352:                              ;   in Loop: Header=BB0_130 Depth=3
	s_and_not1_saveexec_b32 s22, s22
; %bb.353:                              ;   in Loop: Header=BB0_130 Depth=3
	v_cmp_lt_i16_e32 vcc_lo, -1, v18
	v_cndmask_b32_e32 v4, 0xff800000, v21, vcc_lo
	v_cmp_eq_u32_e32 vcc_lo, 0, v5
	s_delay_alu instid0(VALU_DEP_2)
	v_cndmask_b32_e32 v16, 0x7f800001, v4, vcc_lo
; %bb.354:                              ;   in Loop: Header=BB0_130 Depth=3
	s_or_b32 exec_lo, exec_lo, s22
.LBB0_355:                              ;   in Loop: Header=BB0_130 Depth=3
	s_delay_alu instid0(SALU_CYCLE_1)
	s_or_b32 exec_lo, exec_lo, s21
.LBB0_356:                              ;   in Loop: Header=BB0_130 Depth=3
	s_delay_alu instid0(SALU_CYCLE_1) | instskip(SKIP_2) | instid1(VALU_DEP_1)
	s_or_b32 exec_lo, exec_lo, s8
	v_lshrrev_b16 v4, 8, v54
	s_mov_b32 s8, exec_lo
	v_cmpx_ne_u16_e32 0, v4
	s_cbranch_execz .LBB0_366
; %bb.357:                              ;   in Loop: Header=BB0_130 Depth=3
	v_bfrev_b32_e32 v2, 1
	s_mov_b32 s21, exec_lo
	v_cmpx_ne_u16_e32 0x80, v4
	s_cbranch_execz .LBB0_365
; %bb.358:                              ;   in Loop: Header=BB0_130 Depth=3
	v_and_b32_e32 v17, 0xffff, v4
	s_delay_alu instid0(VALU_DEP_1) | instskip(SKIP_1) | instid1(VALU_DEP_2)
	v_and_b32_e32 v2, 0x7c, v17
	v_and_b32_e32 v5, 3, v17
	v_cmp_ne_u32_e32 vcc_lo, 0x7c, v2
                                        ; implicit-def: $vgpr2
	s_and_saveexec_b32 s22, vcc_lo
	s_delay_alu instid0(SALU_CYCLE_1)
	s_xor_b32 s22, exec_lo, s22
	s_cbranch_execz .LBB0_362
; %bb.359:                              ;   in Loop: Header=BB0_130 Depth=3
	v_bfe_u32 v2, v17, 2, 5
	s_mov_b32 s23, exec_lo
	s_delay_alu instid0(VALU_DEP_1)
	v_cmpx_eq_u32_e32 0, v2
	s_cbranch_execz .LBB0_361
; %bb.360:                              ;   in Loop: Header=BB0_130 Depth=3
	v_clz_i32_u32_e32 v2, v5
	s_delay_alu instid0(VALU_DEP_1) | instskip(SKIP_1) | instid1(VALU_DEP_2)
	v_min_u32_e32 v2, 32, v2
	v_mov_b32_e32 v5, v55
	v_subrev_nc_u32_e32 v17, 29, v2
	v_sub_nc_u32_e32 v2, 30, v2
	s_delay_alu instid0(VALU_DEP_2) | instskip(NEXT) | instid1(VALU_DEP_1)
	v_lshlrev_b64_e32 v[4:5], v17, v[4:5]
	v_and_b32_e32 v5, 3, v4
.LBB0_361:                              ;   in Loop: Header=BB0_130 Depth=3
	s_or_b32 exec_lo, exec_lo, s23
	v_lshlrev_b32_e32 v4, 16, v54
	s_delay_alu instid0(VALU_DEP_1) | instskip(NEXT) | instid1(VALU_DEP_1)
	v_and_b32_e32 v4, 0x80000000, v4
	v_lshl_add_u32 v2, v2, 23, v4
	s_delay_alu instid0(VALU_DEP_1) | instskip(NEXT) | instid1(VALU_DEP_1)
	v_lshl_or_b32 v2, v5, 21, v2
                                        ; implicit-def: $vgpr5
	v_add_nc_u32_e32 v2, 0x38000000, v2
.LBB0_362:                              ;   in Loop: Header=BB0_130 Depth=3
	s_and_not1_saveexec_b32 s22, s22
; %bb.363:                              ;   in Loop: Header=BB0_130 Depth=3
	v_cmp_lt_i16_e32 vcc_lo, -1, v54
	v_cndmask_b32_e32 v2, 0xff800000, v21, vcc_lo
	v_cmp_eq_u32_e32 vcc_lo, 0, v5
	s_delay_alu instid0(VALU_DEP_2)
	v_cndmask_b32_e32 v2, 0x7f800001, v2, vcc_lo
; %bb.364:                              ;   in Loop: Header=BB0_130 Depth=3
	s_or_b32 exec_lo, exec_lo, s22
.LBB0_365:                              ;   in Loop: Header=BB0_130 Depth=3
	s_delay_alu instid0(SALU_CYCLE_1)
	s_or_b32 exec_lo, exec_lo, s21
.LBB0_366:                              ;   in Loop: Header=BB0_130 Depth=3
	s_delay_alu instid0(SALU_CYCLE_1) | instskip(NEXT) | instid1(VALU_DEP_1)
	s_or_b32 exec_lo, exec_lo, s8
	v_dual_mul_f32 v16, v16, v2 :: v_dual_mov_b32 v75, v55
	s_delay_alu instid0(VALU_DEP_1) | instskip(SKIP_2) | instid1(VALU_DEP_2)
	v_dual_mov_b32 v5, v55 :: v_dual_lshrrev_b32 v2, 24, v16
	v_and_b32_e32 v74, 0x7f800000, v16
	v_and_b32_e32 v4, 0x7fffff, v16
	v_cmp_ne_u64_e32 vcc_lo, 0x7f800000, v[74:75]
                                        ; implicit-def: $vgpr74
	s_and_saveexec_b32 s8, vcc_lo
	s_delay_alu instid0(SALU_CYCLE_1)
	s_xor_b32 s21, exec_lo, s8
	s_cbranch_execz .LBB0_380
; %bb.367:                              ;   in Loop: Header=BB0_130 Depth=3
	v_and_b32_e32 v74, 0x7fffffff, v16
	v_mov_b32_e32 v75, v55
	v_and_b32_e32 v2, 0x80, v2
	s_delay_alu instid0(VALU_DEP_2) | instskip(SKIP_1) | instid1(SALU_CYCLE_1)
	v_cmp_gt_u64_e32 vcc_lo, 0x47600001, v[74:75]
                                        ; implicit-def: $vgpr74
	s_and_saveexec_b32 s8, vcc_lo
	s_xor_b32 s22, exec_lo, s8
	s_cbranch_execz .LBB0_377
; %bb.368:                              ;   in Loop: Header=BB0_130 Depth=3
	v_mov_b32_e32 v74, 0
	s_mov_b32 s23, exec_lo
	v_cmpx_ne_u32_e32 0, v16
	s_cbranch_execz .LBB0_376
; %bb.369:                              ;   in Loop: Header=BB0_130 Depth=3
	v_bfe_u32 v74, v16, 23, 8
	v_or_b32_e32 v76, 0x800000, v4
	s_delay_alu instid0(VALU_DEP_2) | instskip(SKIP_1) | instid1(VALU_DEP_2)
	v_sub_nc_u32_e32 v16, 0x71, v74
	v_cmp_gt_u32_e32 vcc_lo, 0x72, v74
	v_cndmask_b32_e32 v16, 0, v16, vcc_lo
	v_cmp_eq_u32_e32 vcc_lo, 0, v74
	s_delay_alu instid0(VALU_DEP_2) | instskip(NEXT) | instid1(VALU_DEP_1)
	v_cndmask_b32_e64 v75, v16, 0x70, vcc_lo
	v_dual_cndmask_b32 v4, v76, v4, vcc_lo :: v_dual_add_nc_u32 v16, 21, v75
	v_add_nc_u32_e32 v77, 20, v75
	s_delay_alu instid0(VALU_DEP_2) | instskip(NEXT) | instid1(VALU_DEP_2)
	v_lshlrev_b64_e64 v[16:17], v16, -1
	v_lshlrev_b64_e64 v[76:77], v77, 1
	s_delay_alu instid0(VALU_DEP_2) | instskip(SKIP_1) | instid1(VALU_DEP_4)
	v_bfi_b32 v16, v16, 0, v4
	v_lshrrev_b64 v[4:5], v75, v[4:5]
	v_bfi_b32 v17, v17, 0, 0
	s_delay_alu instid0(VALU_DEP_1) | instskip(NEXT) | instid1(VALU_DEP_3)
	v_cmp_eq_u64_e64 s8, v[16:17], v[76:77]
	v_mov_b64_e32 v[16:17], v[4:5]
	s_and_saveexec_b32 s24, s8
; %bb.370:                              ;   in Loop: Header=BB0_130 Depth=3
	v_bfe_u32 v16, v4, 21, 1
	v_mov_b32_e32 v17, v55
	s_delay_alu instid0(VALU_DEP_1) | instskip(NEXT) | instid1(VALU_DEP_1)
	v_add_nc_u64_e32 v[16:17], v[4:5], v[16:17]
	v_add_nc_u64_e32 v[16:17], -1, v[16:17]
; %bb.371:                              ;   in Loop: Header=BB0_130 Depth=3
	s_or_b32 exec_lo, exec_lo, s24
	v_add_nc_u32_e32 v5, 0xffffff81, v74
	v_lshrrev_b32_e32 v17, 23, v4
	s_mov_b32 s8, exec_lo
	s_delay_alu instid0(VALU_DEP_2) | instskip(NEXT) | instid1(VALU_DEP_1)
	v_cndmask_b32_e64 v5, v5, 0xffffff82, vcc_lo
	v_add3_u32 v17, v75, v5, v17
	v_and_b32_e32 v5, 0x1fffff, v16
                                        ; implicit-def: $vgpr16
	s_delay_alu instid0(VALU_DEP_1) | instskip(SKIP_1) | instid1(VALU_DEP_2)
	v_dual_add_nc_u32 v74, 14, v17 :: v_dual_add_nc_u32 v4, v5, v4
	v_mov_b32_e32 v5, v55
	v_cmpx_ne_u32_e32 0, v74
	s_xor_b32 s8, exec_lo, s8
; %bb.372:                              ;   in Loop: Header=BB0_130 Depth=3
	s_delay_alu instid0(VALU_DEP_2) | instskip(SKIP_2) | instid1(VALU_DEP_2)
	v_cmp_lt_u64_e32 vcc_lo, 0xffffff, v[4:5]
	v_add_nc_u32_e32 v16, 15, v17
	v_cndmask_b32_e64 v17, 0, 1, vcc_lo
	v_cndmask_b32_e32 v16, v74, v16, vcc_lo
	s_delay_alu instid0(VALU_DEP_2)
	v_lshrrev_b64 v[4:5], v17, v[4:5]
; %bb.373:                              ;   in Loop: Header=BB0_130 Depth=3
	s_and_not1_saveexec_b32 s8, s8
; %bb.374:                              ;   in Loop: Header=BB0_130 Depth=3
	s_delay_alu instid0(VALU_DEP_1)
	v_bfe_u32 v16, v4, 23, 1
; %bb.375:                              ;   in Loop: Header=BB0_130 Depth=3
	s_or_b32 exec_lo, exec_lo, s8
	s_delay_alu instid0(VALU_DEP_2) | instskip(NEXT) | instid1(VALU_DEP_2)
	v_lshrrev_b64 v[4:5], 21, v[4:5]
	v_cmp_gt_i32_e32 vcc_lo, 32, v16
	v_min_i32_e32 v17, 31, v16
	v_cmp_eq_u32_e64 s8, 0, v16
	s_delay_alu instid0(VALU_DEP_4) | instskip(NEXT) | instid1(VALU_DEP_3)
	v_cndmask_b32_e32 v5, 0, v5, vcc_lo
	v_dual_cndmask_b32 v4, 3, v4 :: v_dual_lshlrev_b32 v17, 2, v17
	s_delay_alu instid0(VALU_DEP_1) | instskip(NEXT) | instid1(VALU_DEP_2)
	v_and_b32_e32 v17, 0xfc, v17
	v_cmp_eq_u64_e32 vcc_lo, 0, v[4:5]
	s_delay_alu instid0(VALU_DEP_2)
	v_and_or_b32 v4, v4, 3, v17
	s_and_b32 s8, s8, vcc_lo
	s_delay_alu instid0(VALU_DEP_1) | instid1(SALU_CYCLE_1)
	v_cndmask_b32_e64 v4, v4, 0, s8
	s_delay_alu instid0(VALU_DEP_1)
	v_or_b32_e32 v74, v4, v2
.LBB0_376:                              ;   in Loop: Header=BB0_130 Depth=3
	s_or_b32 exec_lo, exec_lo, s23
                                        ; implicit-def: $vgpr2
.LBB0_377:                              ;   in Loop: Header=BB0_130 Depth=3
	s_and_not1_saveexec_b32 s8, s22
; %bb.378:                              ;   in Loop: Header=BB0_130 Depth=3
	v_or_b32_e32 v74, 0x7b, v2
; %bb.379:                              ;   in Loop: Header=BB0_130 Depth=3
	s_or_b32 exec_lo, exec_lo, s8
                                        ; implicit-def: $vgpr16
                                        ; implicit-def: $vgpr4_vgpr5
                                        ; implicit-def: $vgpr2
.LBB0_380:                              ;   in Loop: Header=BB0_130 Depth=3
	s_and_not1_saveexec_b32 s8, s21
	s_cbranch_execz .LBB0_386
; %bb.381:                              ;   in Loop: Header=BB0_130 Depth=3
	s_mov_b32 s21, exec_lo
                                        ; implicit-def: $vgpr74
	v_cmpx_ne_u64_e32 0, v[4:5]
	s_xor_b32 s21, exec_lo, s21
; %bb.382:                              ;   in Loop: Header=BB0_130 Depth=3
	v_or_b32_e32 v74, 0x7f, v2
                                        ; implicit-def: $vgpr16
; %bb.383:                              ;   in Loop: Header=BB0_130 Depth=3
	s_and_not1_saveexec_b32 s21, s21
; %bb.384:                              ;   in Loop: Header=BB0_130 Depth=3
	v_cmp_lt_i32_e32 vcc_lo, -1, v16
	v_cndmask_b32_e32 v74, 0xfc, v58, vcc_lo
; %bb.385:                              ;   in Loop: Header=BB0_130 Depth=3
	s_or_b32 exec_lo, exec_lo, s21
.LBB0_386:                              ;   in Loop: Header=BB0_130 Depth=3
	s_delay_alu instid0(SALU_CYCLE_1) | instskip(SKIP_3) | instid1(VALU_DEP_2)
	s_or_b32 exec_lo, exec_lo, s8
	v_dual_lshrrev_b32 v2, 16, v18 :: v_dual_mov_b32 v4, 0
	v_mov_b32_e32 v5, 0
	s_mov_b32 s8, exec_lo
	v_and_b32_e32 v16, 0xff, v2
	s_delay_alu instid0(VALU_DEP_1)
	v_cmpx_ne_u16_e32 0, v16
	s_cbranch_execz .LBB0_396
; %bb.387:                              ;   in Loop: Header=BB0_130 Depth=3
	v_bfrev_b32_e32 v5, 1
	s_mov_b32 s21, exec_lo
	v_cmpx_ne_u16_e32 0x80, v16
	s_cbranch_execz .LBB0_395
; %bb.388:                              ;   in Loop: Header=BB0_130 Depth=3
	v_and_b32_e32 v5, 0x7c0000, v18
	v_bfe_u32 v16, v18, 16, 2
	s_delay_alu instid0(VALU_DEP_2) | instskip(SKIP_1) | instid1(SALU_CYCLE_1)
	v_cmp_ne_u32_e32 vcc_lo, 0x7c0000, v5
                                        ; implicit-def: $vgpr5
	s_and_saveexec_b32 s22, vcc_lo
	s_xor_b32 s22, exec_lo, s22
	s_cbranch_execz .LBB0_392
; %bb.389:                              ;   in Loop: Header=BB0_130 Depth=3
	v_bfe_u32 v5, v18, 18, 5
	s_mov_b32 s23, exec_lo
	s_delay_alu instid0(VALU_DEP_1)
	v_cmpx_eq_u32_e32 0, v5
; %bb.390:                              ;   in Loop: Header=BB0_130 Depth=3
	v_clz_i32_u32_e32 v5, v16
	s_delay_alu instid0(VALU_DEP_1) | instskip(NEXT) | instid1(VALU_DEP_1)
	v_min_u32_e32 v5, 32, v5
	v_subrev_nc_u32_e32 v16, 29, v5
	s_delay_alu instid0(VALU_DEP_1) | instskip(NEXT) | instid1(VALU_DEP_1)
	v_lshlrev_b64_e32 v[16:17], v16, v[2:3]
	v_dual_sub_nc_u32 v5, 30, v5 :: v_dual_bitop2_b32 v16, 3, v16 bitop3:0x40
; %bb.391:                              ;   in Loop: Header=BB0_130 Depth=3
	s_or_b32 exec_lo, exec_lo, s23
	v_lshlrev_b32_e32 v2, 24, v2
	s_delay_alu instid0(VALU_DEP_1) | instskip(NEXT) | instid1(VALU_DEP_1)
	v_and_b32_e32 v2, 0x80000000, v2
	v_lshl_add_u32 v2, v5, 23, v2
	s_delay_alu instid0(VALU_DEP_1) | instskip(NEXT) | instid1(VALU_DEP_1)
	v_lshl_or_b32 v2, v16, 21, v2
                                        ; implicit-def: $vgpr16
	v_add_nc_u32_e32 v5, 0x38000000, v2
                                        ; implicit-def: $vgpr2
.LBB0_392:                              ;   in Loop: Header=BB0_130 Depth=3
	s_and_not1_saveexec_b32 s22, s22
; %bb.393:                              ;   in Loop: Header=BB0_130 Depth=3
	v_bfe_i32 v2, v2, 0, 8
	s_delay_alu instid0(VALU_DEP_1) | instskip(SKIP_2) | instid1(VALU_DEP_2)
	v_cmp_lt_i16_e32 vcc_lo, -1, v2
	v_cndmask_b32_e32 v2, 0xff800000, v21, vcc_lo
	v_cmp_eq_u32_e32 vcc_lo, 0, v16
	v_cndmask_b32_e32 v5, 0x7f800001, v2, vcc_lo
; %bb.394:                              ;   in Loop: Header=BB0_130 Depth=3
	s_or_b32 exec_lo, exec_lo, s22
.LBB0_395:                              ;   in Loop: Header=BB0_130 Depth=3
	s_delay_alu instid0(SALU_CYCLE_1)
	s_or_b32 exec_lo, exec_lo, s21
.LBB0_396:                              ;   in Loop: Header=BB0_130 Depth=3
	s_delay_alu instid0(SALU_CYCLE_1) | instskip(SKIP_2) | instid1(VALU_DEP_1)
	s_or_b32 exec_lo, exec_lo, s8
	v_lshrrev_b32_e32 v2, 16, v54
	s_mov_b32 s8, exec_lo
	v_and_b32_e32 v16, 0xff, v2
	s_delay_alu instid0(VALU_DEP_1)
	v_cmpx_ne_u16_e32 0, v16
	s_cbranch_execz .LBB0_406
; %bb.397:                              ;   in Loop: Header=BB0_130 Depth=3
	v_bfrev_b32_e32 v4, 1
	s_mov_b32 s21, exec_lo
	v_cmpx_ne_u16_e32 0x80, v16
	s_cbranch_execz .LBB0_405
; %bb.398:                              ;   in Loop: Header=BB0_130 Depth=3
	v_and_b32_e32 v4, 0x7c0000, v54
	v_bfe_u32 v16, v54, 16, 2
	s_delay_alu instid0(VALU_DEP_2) | instskip(SKIP_1) | instid1(SALU_CYCLE_1)
	v_cmp_ne_u32_e32 vcc_lo, 0x7c0000, v4
                                        ; implicit-def: $vgpr4
	s_and_saveexec_b32 s22, vcc_lo
	s_xor_b32 s22, exec_lo, s22
	s_cbranch_execz .LBB0_402
; %bb.399:                              ;   in Loop: Header=BB0_130 Depth=3
	v_bfe_u32 v4, v54, 18, 5
	s_mov_b32 s23, exec_lo
	s_delay_alu instid0(VALU_DEP_1)
	v_cmpx_eq_u32_e32 0, v4
; %bb.400:                              ;   in Loop: Header=BB0_130 Depth=3
	v_clz_i32_u32_e32 v4, v16
	s_delay_alu instid0(VALU_DEP_1) | instskip(NEXT) | instid1(VALU_DEP_1)
	v_min_u32_e32 v4, 32, v4
	v_subrev_nc_u32_e32 v16, 29, v4
	v_sub_nc_u32_e32 v4, 30, v4
	s_delay_alu instid0(VALU_DEP_2) | instskip(NEXT) | instid1(VALU_DEP_1)
	v_lshlrev_b64_e32 v[16:17], v16, v[2:3]
	v_and_b32_e32 v16, 3, v16
; %bb.401:                              ;   in Loop: Header=BB0_130 Depth=3
	s_or_b32 exec_lo, exec_lo, s23
	v_lshlrev_b32_e32 v2, 24, v2
	s_delay_alu instid0(VALU_DEP_1) | instskip(NEXT) | instid1(VALU_DEP_1)
	v_and_b32_e32 v2, 0x80000000, v2
	v_lshl_add_u32 v2, v4, 23, v2
	s_delay_alu instid0(VALU_DEP_1) | instskip(NEXT) | instid1(VALU_DEP_1)
	v_lshl_or_b32 v2, v16, 21, v2
                                        ; implicit-def: $vgpr16
	v_add_nc_u32_e32 v4, 0x38000000, v2
                                        ; implicit-def: $vgpr2
.LBB0_402:                              ;   in Loop: Header=BB0_130 Depth=3
	s_and_not1_saveexec_b32 s22, s22
; %bb.403:                              ;   in Loop: Header=BB0_130 Depth=3
	v_bfe_i32 v2, v2, 0, 8
	s_delay_alu instid0(VALU_DEP_1) | instskip(SKIP_2) | instid1(VALU_DEP_2)
	v_cmp_lt_i16_e32 vcc_lo, -1, v2
	v_cndmask_b32_e32 v2, 0xff800000, v21, vcc_lo
	v_cmp_eq_u32_e32 vcc_lo, 0, v16
	v_cndmask_b32_e32 v4, 0x7f800001, v2, vcc_lo
; %bb.404:                              ;   in Loop: Header=BB0_130 Depth=3
	s_or_b32 exec_lo, exec_lo, s22
.LBB0_405:                              ;   in Loop: Header=BB0_130 Depth=3
	s_delay_alu instid0(SALU_CYCLE_1)
	s_or_b32 exec_lo, exec_lo, s21
.LBB0_406:                              ;   in Loop: Header=BB0_130 Depth=3
	s_delay_alu instid0(SALU_CYCLE_1) | instskip(NEXT) | instid1(VALU_DEP_1)
	s_or_b32 exec_lo, exec_lo, s8
	v_dual_mul_f32 v16, v5, v4 :: v_dual_mov_b32 v77, v55
	v_mov_b32_e32 v5, v55
                                        ; implicit-def: $vgpr75
	s_mov_b32 s8, exec_lo
	s_delay_alu instid0(VALU_DEP_2) | instskip(SKIP_2) | instid1(VALU_DEP_3)
	v_and_b32_e32 v76, 0x7f800000, v16
	v_and_b32_e32 v4, 0x7fffff, v16
	v_lshrrev_b32_e32 v2, 24, v16
	v_cmpx_ne_u64_e32 0x7f800000, v[76:77]
	s_xor_b32 s21, exec_lo, s8
	s_cbranch_execz .LBB0_420
; %bb.407:                              ;   in Loop: Header=BB0_130 Depth=3
	v_and_b32_e32 v76, 0x7fffffff, v16
	v_mov_b32_e32 v77, v55
	v_and_b32_e32 v2, 0x80, v2
                                        ; implicit-def: $vgpr75
	s_mov_b32 s8, exec_lo
	s_delay_alu instid0(VALU_DEP_2)
	v_cmpx_gt_u64_e32 0x47600001, v[76:77]
	s_xor_b32 s22, exec_lo, s8
	s_cbranch_execz .LBB0_417
; %bb.408:                              ;   in Loop: Header=BB0_130 Depth=3
	v_mov_b32_e32 v75, 0
	s_mov_b32 s23, exec_lo
	v_cmpx_ne_u32_e32 0, v16
	s_cbranch_execz .LBB0_416
; %bb.409:                              ;   in Loop: Header=BB0_130 Depth=3
	v_bfe_u32 v75, v16, 23, 8
	v_or_b32_e32 v77, 0x800000, v4
	s_delay_alu instid0(VALU_DEP_2) | instskip(SKIP_1) | instid1(VALU_DEP_2)
	v_sub_nc_u32_e32 v16, 0x71, v75
	v_cmp_gt_u32_e32 vcc_lo, 0x72, v75
	v_cndmask_b32_e32 v16, 0, v16, vcc_lo
	v_cmp_eq_u32_e32 vcc_lo, 0, v75
	s_delay_alu instid0(VALU_DEP_2) | instskip(SKIP_1) | instid1(VALU_DEP_2)
	v_cndmask_b32_e64 v76, v16, 0x70, vcc_lo
	v_cndmask_b32_e32 v4, v77, v4, vcc_lo
	v_dual_add_nc_u32 v16, 21, v76 :: v_dual_add_nc_u32 v78, 20, v76
	s_delay_alu instid0(VALU_DEP_1) | instskip(NEXT) | instid1(VALU_DEP_2)
	v_lshlrev_b64_e64 v[16:17], v16, -1
	v_lshlrev_b64_e64 v[78:79], v78, 1
	s_delay_alu instid0(VALU_DEP_2) | instskip(SKIP_1) | instid1(VALU_DEP_4)
	v_bfi_b32 v16, v16, 0, v4
	v_lshrrev_b64 v[4:5], v76, v[4:5]
	v_bfi_b32 v17, v17, 0, 0
	s_delay_alu instid0(VALU_DEP_1) | instskip(NEXT) | instid1(VALU_DEP_3)
	v_cmp_eq_u64_e64 s8, v[16:17], v[78:79]
	v_mov_b64_e32 v[16:17], v[4:5]
	s_and_saveexec_b32 s24, s8
; %bb.410:                              ;   in Loop: Header=BB0_130 Depth=3
	v_bfe_u32 v16, v4, 21, 1
	v_mov_b32_e32 v17, v55
	s_delay_alu instid0(VALU_DEP_1) | instskip(NEXT) | instid1(VALU_DEP_1)
	v_add_nc_u64_e32 v[16:17], v[4:5], v[16:17]
	v_add_nc_u64_e32 v[16:17], -1, v[16:17]
; %bb.411:                              ;   in Loop: Header=BB0_130 Depth=3
	s_or_b32 exec_lo, exec_lo, s24
	v_add_nc_u32_e32 v5, 0xffffff81, v75
	v_lshrrev_b32_e32 v17, 23, v4
	s_mov_b32 s8, exec_lo
	s_delay_alu instid0(VALU_DEP_2) | instskip(NEXT) | instid1(VALU_DEP_1)
	v_cndmask_b32_e64 v5, v5, 0xffffff82, vcc_lo
	v_add3_u32 v17, v76, v5, v17
	v_and_b32_e32 v5, 0x1fffff, v16
                                        ; implicit-def: $vgpr16
	s_delay_alu instid0(VALU_DEP_1) | instskip(SKIP_1) | instid1(VALU_DEP_2)
	v_dual_add_nc_u32 v75, 14, v17 :: v_dual_add_nc_u32 v4, v5, v4
	v_mov_b32_e32 v5, v55
	v_cmpx_ne_u32_e32 0, v75
	s_xor_b32 s8, exec_lo, s8
; %bb.412:                              ;   in Loop: Header=BB0_130 Depth=3
	s_delay_alu instid0(VALU_DEP_2) | instskip(SKIP_2) | instid1(VALU_DEP_2)
	v_cmp_lt_u64_e32 vcc_lo, 0xffffff, v[4:5]
	v_add_nc_u32_e32 v16, 15, v17
	v_cndmask_b32_e64 v17, 0, 1, vcc_lo
	v_cndmask_b32_e32 v16, v75, v16, vcc_lo
	s_delay_alu instid0(VALU_DEP_2)
	v_lshrrev_b64 v[4:5], v17, v[4:5]
; %bb.413:                              ;   in Loop: Header=BB0_130 Depth=3
	s_and_not1_saveexec_b32 s8, s8
; %bb.414:                              ;   in Loop: Header=BB0_130 Depth=3
	s_delay_alu instid0(VALU_DEP_1)
	v_bfe_u32 v16, v4, 23, 1
; %bb.415:                              ;   in Loop: Header=BB0_130 Depth=3
	s_or_b32 exec_lo, exec_lo, s8
	s_delay_alu instid0(VALU_DEP_2) | instskip(NEXT) | instid1(VALU_DEP_2)
	v_lshrrev_b64 v[4:5], 21, v[4:5]
	v_cmp_gt_i32_e32 vcc_lo, 32, v16
	v_min_i32_e32 v17, 31, v16
	v_cmp_eq_u32_e64 s8, 0, v16
	s_delay_alu instid0(VALU_DEP_4) | instskip(NEXT) | instid1(VALU_DEP_3)
	v_cndmask_b32_e32 v5, 0, v5, vcc_lo
	v_dual_cndmask_b32 v4, 3, v4 :: v_dual_lshlrev_b32 v17, 2, v17
	s_delay_alu instid0(VALU_DEP_1) | instskip(NEXT) | instid1(VALU_DEP_2)
	v_and_b32_e32 v17, 0xfc, v17
	v_cmp_eq_u64_e32 vcc_lo, 0, v[4:5]
	s_delay_alu instid0(VALU_DEP_2)
	v_and_or_b32 v4, v4, 3, v17
	s_and_b32 s8, s8, vcc_lo
	s_delay_alu instid0(VALU_DEP_1) | instid1(SALU_CYCLE_1)
	v_cndmask_b32_e64 v4, v4, 0, s8
	s_delay_alu instid0(VALU_DEP_1)
	v_or_b32_e32 v75, v4, v2
.LBB0_416:                              ;   in Loop: Header=BB0_130 Depth=3
	s_or_b32 exec_lo, exec_lo, s23
                                        ; implicit-def: $vgpr2
.LBB0_417:                              ;   in Loop: Header=BB0_130 Depth=3
	s_and_not1_saveexec_b32 s8, s22
; %bb.418:                              ;   in Loop: Header=BB0_130 Depth=3
	v_or_b32_e32 v75, 0x7b, v2
; %bb.419:                              ;   in Loop: Header=BB0_130 Depth=3
	s_or_b32 exec_lo, exec_lo, s8
                                        ; implicit-def: $vgpr16
                                        ; implicit-def: $vgpr4_vgpr5
                                        ; implicit-def: $vgpr2
.LBB0_420:                              ;   in Loop: Header=BB0_130 Depth=3
	s_and_not1_saveexec_b32 s8, s21
	s_cbranch_execz .LBB0_426
; %bb.421:                              ;   in Loop: Header=BB0_130 Depth=3
	s_mov_b32 s21, exec_lo
                                        ; implicit-def: $vgpr75
	v_cmpx_ne_u64_e32 0, v[4:5]
	s_xor_b32 s21, exec_lo, s21
; %bb.422:                              ;   in Loop: Header=BB0_130 Depth=3
	v_or_b32_e32 v75, 0x7f, v2
                                        ; implicit-def: $vgpr16
; %bb.423:                              ;   in Loop: Header=BB0_130 Depth=3
	s_and_not1_saveexec_b32 s21, s21
; %bb.424:                              ;   in Loop: Header=BB0_130 Depth=3
	v_cmp_lt_i32_e32 vcc_lo, -1, v16
	v_cndmask_b32_e32 v75, 0xfc, v58, vcc_lo
; %bb.425:                              ;   in Loop: Header=BB0_130 Depth=3
	s_or_b32 exec_lo, exec_lo, s21
.LBB0_426:                              ;   in Loop: Header=BB0_130 Depth=3
	s_delay_alu instid0(SALU_CYCLE_1) | instskip(SKIP_3) | instid1(VALU_DEP_2)
	s_or_b32 exec_lo, exec_lo, s8
	v_dual_mov_b32 v4, v55 :: v_dual_mov_b32 v5, v18
	v_dual_mov_b32 v16, 0 :: v_dual_mov_b32 v17, 0
	s_mov_b32 s8, exec_lo
	v_cmpx_lt_u64_e64 s[12:13], v[4:5]
	s_cbranch_execz .LBB0_436
; %bb.427:                              ;   in Loop: Header=BB0_130 Depth=3
	v_lshrrev_b32_e32 v2, 24, v18
	v_bfrev_b32_e32 v17, 1
	s_mov_b32 s21, exec_lo
	s_delay_alu instid0(VALU_DEP_2)
	v_cmpx_ne_u32_e32 0x80, v2
	s_cbranch_execz .LBB0_435
; %bb.428:                              ;   in Loop: Header=BB0_130 Depth=3
	v_and_b32_e32 v17, 0x7c000000, v18
	v_bfe_u32 v76, v18, 24, 2
	s_delay_alu instid0(VALU_DEP_2) | instskip(SKIP_1) | instid1(SALU_CYCLE_1)
	v_cmp_ne_u32_e32 vcc_lo, 0x7c000000, v17
                                        ; implicit-def: $vgpr17
	s_and_saveexec_b32 s22, vcc_lo
	s_xor_b32 s22, exec_lo, s22
	s_cbranch_execz .LBB0_432
; %bb.429:                              ;   in Loop: Header=BB0_130 Depth=3
	v_bfe_u32 v4, v18, 26, 5
	s_mov_b32 s23, exec_lo
	s_delay_alu instid0(VALU_DEP_1)
	v_cmpx_eq_u32_e32 0, v4
; %bb.430:                              ;   in Loop: Header=BB0_130 Depth=3
	v_clz_i32_u32_e32 v4, v76
	s_delay_alu instid0(VALU_DEP_1) | instskip(NEXT) | instid1(VALU_DEP_1)
	v_min_u32_e32 v4, 32, v4
	v_subrev_nc_u32_e32 v5, 29, v4
	v_sub_nc_u32_e32 v4, 30, v4
	s_delay_alu instid0(VALU_DEP_2) | instskip(NEXT) | instid1(VALU_DEP_1)
	v_lshlrev_b64_e32 v[76:77], v5, v[2:3]
	v_and_b32_e32 v76, 3, v76
; %bb.431:                              ;   in Loop: Header=BB0_130 Depth=3
	s_or_b32 exec_lo, exec_lo, s23
	v_and_b32_e32 v2, 0x80000000, v18
	s_delay_alu instid0(VALU_DEP_1) | instskip(NEXT) | instid1(VALU_DEP_1)
	v_lshl_add_u32 v2, v4, 23, v2
                                        ; implicit-def: $vgpr4_vgpr5
	v_lshl_or_b32 v2, v76, 21, v2
                                        ; implicit-def: $vgpr76
	s_delay_alu instid0(VALU_DEP_1)
	v_add_nc_u32_e32 v17, 0x38000000, v2
.LBB0_432:                              ;   in Loop: Header=BB0_130 Depth=3
	s_and_not1_saveexec_b32 s22, s22
; %bb.433:                              ;   in Loop: Header=BB0_130 Depth=3
	v_cmp_lt_i64_e32 vcc_lo, -1, v[4:5]
	v_cndmask_b32_e32 v2, 0xff800000, v21, vcc_lo
	v_cmp_eq_u32_e32 vcc_lo, 0, v76
	s_delay_alu instid0(VALU_DEP_2)
	v_cndmask_b32_e32 v17, 0x7f800001, v2, vcc_lo
; %bb.434:                              ;   in Loop: Header=BB0_130 Depth=3
	s_or_b32 exec_lo, exec_lo, s22
.LBB0_435:                              ;   in Loop: Header=BB0_130 Depth=3
	s_delay_alu instid0(SALU_CYCLE_1)
	s_or_b32 exec_lo, exec_lo, s21
.LBB0_436:                              ;   in Loop: Header=BB0_130 Depth=3
	s_delay_alu instid0(SALU_CYCLE_1) | instskip(NEXT) | instid1(SALU_CYCLE_1)
	s_or_b32 exec_lo, exec_lo, s8
	s_mov_b32 s8, exec_lo
	v_cmpx_lt_u32_e32 0xffffff, v54
	s_cbranch_execz .LBB0_446
; %bb.437:                              ;   in Loop: Header=BB0_130 Depth=3
	v_lshrrev_b32_e32 v2, 24, v54
	v_bfrev_b32_e32 v16, 1
	s_mov_b32 s21, exec_lo
	s_delay_alu instid0(VALU_DEP_2)
	v_cmpx_ne_u32_e32 0x80, v2
	s_cbranch_execz .LBB0_445
; %bb.438:                              ;   in Loop: Header=BB0_130 Depth=3
	v_and_b32_e32 v5, 0x7c000000, v54
	v_bfe_u32 v4, v54, 24, 2
	s_mov_b32 s22, exec_lo
                                        ; implicit-def: $vgpr16
	s_delay_alu instid0(VALU_DEP_2)
	v_cmpx_ne_u32_e32 0x7c000000, v5
	s_xor_b32 s22, exec_lo, s22
	s_cbranch_execz .LBB0_442
; %bb.439:                              ;   in Loop: Header=BB0_130 Depth=3
	v_bfe_u32 v5, v54, 26, 5
	s_mov_b32 s23, exec_lo
	s_delay_alu instid0(VALU_DEP_1)
	v_cmpx_eq_u32_e32 0, v5
; %bb.440:                              ;   in Loop: Header=BB0_130 Depth=3
	v_clz_i32_u32_e32 v4, v4
	s_delay_alu instid0(VALU_DEP_1) | instskip(NEXT) | instid1(VALU_DEP_1)
	v_min_u32_e32 v16, 32, v4
	v_subrev_nc_u32_e32 v4, 29, v16
	s_delay_alu instid0(VALU_DEP_1) | instskip(SKIP_1) | instid1(VALU_DEP_2)
	v_lshlrev_b64_e32 v[4:5], v4, v[2:3]
	v_sub_nc_u32_e32 v5, 30, v16
	v_and_b32_e32 v4, 3, v4
; %bb.441:                              ;   in Loop: Header=BB0_130 Depth=3
	s_or_b32 exec_lo, exec_lo, s23
	v_and_b32_e32 v2, 0x80000000, v54
	s_delay_alu instid0(VALU_DEP_1) | instskip(NEXT) | instid1(VALU_DEP_1)
	v_lshl_add_u32 v2, v5, 23, v2
	v_lshl_or_b32 v2, v4, 21, v2
                                        ; implicit-def: $vgpr4
	s_delay_alu instid0(VALU_DEP_1)
	v_add_nc_u32_e32 v16, 0x38000000, v2
.LBB0_442:                              ;   in Loop: Header=BB0_130 Depth=3
	s_and_not1_saveexec_b32 s22, s22
; %bb.443:                              ;   in Loop: Header=BB0_130 Depth=3
	v_cmp_lt_i32_e32 vcc_lo, -1, v54
	v_cndmask_b32_e32 v2, 0xff800000, v21, vcc_lo
	v_cmp_eq_u32_e32 vcc_lo, 0, v4
	s_delay_alu instid0(VALU_DEP_2)
	v_cndmask_b32_e32 v16, 0x7f800001, v2, vcc_lo
; %bb.444:                              ;   in Loop: Header=BB0_130 Depth=3
	s_or_b32 exec_lo, exec_lo, s22
.LBB0_445:                              ;   in Loop: Header=BB0_130 Depth=3
	s_delay_alu instid0(SALU_CYCLE_1)
	s_or_b32 exec_lo, exec_lo, s21
.LBB0_446:                              ;   in Loop: Header=BB0_130 Depth=3
	s_delay_alu instid0(SALU_CYCLE_1) | instskip(NEXT) | instid1(VALU_DEP_1)
	s_or_b32 exec_lo, exec_lo, s8
	v_dual_mul_f32 v5, v17, v16 :: v_dual_mov_b32 v17, v55
                                        ; implicit-def: $vgpr4
	s_mov_b32 s8, exec_lo
	s_delay_alu instid0(VALU_DEP_1) | instskip(SKIP_2) | instid1(VALU_DEP_3)
	v_and_b32_e32 v16, 0x7f800000, v5
	v_and_b32_e32 v54, 0x7fffff, v5
	v_lshrrev_b32_e32 v2, 24, v5
	v_cmpx_ne_u64_e32 0x7f800000, v[16:17]
	s_xor_b32 s21, exec_lo, s8
	s_cbranch_execz .LBB0_460
; %bb.447:                              ;   in Loop: Header=BB0_130 Depth=3
	v_and_b32_e32 v16, 0x7fffffff, v5
	v_mov_b32_e32 v17, v55
	v_and_b32_e32 v2, 0x80, v2
                                        ; implicit-def: $vgpr4
	s_mov_b32 s8, exec_lo
	s_delay_alu instid0(VALU_DEP_2)
	v_cmpx_gt_u64_e32 0x47600001, v[16:17]
	s_xor_b32 s22, exec_lo, s8
	s_cbranch_execz .LBB0_457
; %bb.448:                              ;   in Loop: Header=BB0_130 Depth=3
	v_mov_b32_e32 v4, 0
	s_mov_b32 s23, exec_lo
	v_cmpx_ne_u32_e32 0, v5
	s_cbranch_execz .LBB0_456
; %bb.449:                              ;   in Loop: Header=BB0_130 Depth=3
	v_bfe_u32 v18, v5, 23, 8
	v_or_b32_e32 v16, 0x800000, v54
	s_delay_alu instid0(VALU_DEP_2) | instskip(SKIP_1) | instid1(VALU_DEP_2)
	v_sub_nc_u32_e32 v4, 0x71, v18
	v_cmp_gt_u32_e32 vcc_lo, 0x72, v18
	v_cndmask_b32_e32 v4, 0, v4, vcc_lo
	v_cmp_eq_u32_e32 vcc_lo, 0, v18
	v_cndmask_b32_e32 v54, v16, v54, vcc_lo
	s_delay_alu instid0(VALU_DEP_3) | instskip(NEXT) | instid1(VALU_DEP_1)
	v_cndmask_b32_e64 v76, v4, 0x70, vcc_lo
	v_dual_add_nc_u32 v4, 21, v76 :: v_dual_add_nc_u32 v17, 20, v76
	s_delay_alu instid0(VALU_DEP_1) | instskip(NEXT) | instid1(VALU_DEP_2)
	v_lshlrev_b64_e64 v[4:5], v4, -1
	v_lshlrev_b64_e64 v[16:17], v17, 1
	s_delay_alu instid0(VALU_DEP_2) | instskip(NEXT) | instid1(VALU_DEP_3)
	v_bfi_b32 v79, v5, 0, 0
	v_bfi_b32 v78, v4, 0, v54
	v_lshrrev_b64 v[4:5], v76, v[54:55]
	s_delay_alu instid0(VALU_DEP_2) | instskip(NEXT) | instid1(VALU_DEP_2)
	v_cmp_eq_u64_e64 s8, v[78:79], v[16:17]
	v_mov_b64_e32 v[16:17], v[4:5]
	s_and_saveexec_b32 s24, s8
; %bb.450:                              ;   in Loop: Header=BB0_130 Depth=3
	v_bfe_u32 v54, v4, 21, 1
	s_delay_alu instid0(VALU_DEP_1) | instskip(NEXT) | instid1(VALU_DEP_1)
	v_add_nc_u64_e32 v[16:17], v[4:5], v[54:55]
	v_add_nc_u64_e32 v[16:17], -1, v[16:17]
; %bb.451:                              ;   in Loop: Header=BB0_130 Depth=3
	s_or_b32 exec_lo, exec_lo, s24
	v_add_nc_u32_e32 v5, 0xffffff81, v18
	v_lshrrev_b32_e32 v17, 23, v4
	s_mov_b32 s8, exec_lo
	s_delay_alu instid0(VALU_DEP_2) | instskip(NEXT) | instid1(VALU_DEP_1)
	v_cndmask_b32_e64 v5, v5, 0xffffff82, vcc_lo
	v_add3_u32 v17, v76, v5, v17
	v_and_b32_e32 v5, 0x1fffff, v16
                                        ; implicit-def: $vgpr16
	s_delay_alu instid0(VALU_DEP_1) | instskip(NEXT) | instid1(VALU_DEP_1)
	v_dual_add_nc_u32 v18, 14, v17 :: v_dual_add_nc_u32 v54, v5, v4
                                        ; implicit-def: $vgpr4_vgpr5
	v_cmpx_ne_u32_e32 0, v18
	s_xor_b32 s8, exec_lo, s8
; %bb.452:                              ;   in Loop: Header=BB0_130 Depth=3
	s_delay_alu instid0(VALU_DEP_2) | instskip(SKIP_1) | instid1(VALU_DEP_1)
	v_cmp_lt_u64_e32 vcc_lo, 0xffffff, v[54:55]
	v_add_nc_u32_e32 v4, 15, v17
	v_cndmask_b32_e32 v16, v18, v4, vcc_lo
	v_cndmask_b32_e64 v4, 0, 1, vcc_lo
	s_delay_alu instid0(VALU_DEP_1)
	v_lshrrev_b64 v[4:5], v4, v[54:55]
; %bb.453:                              ;   in Loop: Header=BB0_130 Depth=3
	s_and_not1_saveexec_b32 s8, s8
; %bb.454:                              ;   in Loop: Header=BB0_130 Depth=3
	v_mov_b64_e32 v[4:5], v[54:55]
	v_bfe_u32 v16, v54, 23, 1
; %bb.455:                              ;   in Loop: Header=BB0_130 Depth=3
	s_or_b32 exec_lo, exec_lo, s8
	s_delay_alu instid0(VALU_DEP_2) | instskip(NEXT) | instid1(VALU_DEP_2)
	v_lshrrev_b64 v[4:5], 21, v[4:5]
	v_cmp_gt_i32_e32 vcc_lo, 32, v16
	v_min_i32_e32 v17, 31, v16
	v_cmp_eq_u32_e64 s8, 0, v16
	s_delay_alu instid0(VALU_DEP_4) | instskip(NEXT) | instid1(VALU_DEP_3)
	v_cndmask_b32_e32 v5, 0, v5, vcc_lo
	v_dual_cndmask_b32 v4, 3, v4 :: v_dual_lshlrev_b32 v17, 2, v17
	s_delay_alu instid0(VALU_DEP_1) | instskip(NEXT) | instid1(VALU_DEP_2)
	v_and_b32_e32 v17, 0xfc, v17
	v_cmp_eq_u64_e32 vcc_lo, 0, v[4:5]
	s_delay_alu instid0(VALU_DEP_2)
	v_and_or_b32 v4, v4, 3, v17
	s_and_b32 s8, s8, vcc_lo
	s_delay_alu instid0(VALU_DEP_1) | instid1(SALU_CYCLE_1)
	v_cndmask_b32_e64 v4, v4, 0, s8
	s_delay_alu instid0(VALU_DEP_1)
	v_or_b32_e32 v4, v4, v2
.LBB0_456:                              ;   in Loop: Header=BB0_130 Depth=3
	s_or_b32 exec_lo, exec_lo, s23
                                        ; implicit-def: $vgpr2
.LBB0_457:                              ;   in Loop: Header=BB0_130 Depth=3
	s_and_not1_saveexec_b32 s8, s22
; %bb.458:                              ;   in Loop: Header=BB0_130 Depth=3
	v_or_b32_e32 v4, 0x7b, v2
; %bb.459:                              ;   in Loop: Header=BB0_130 Depth=3
	s_or_b32 exec_lo, exec_lo, s8
                                        ; implicit-def: $vgpr5
                                        ; implicit-def: $vgpr2
.LBB0_460:                              ;   in Loop: Header=BB0_130 Depth=3
	s_and_not1_saveexec_b32 s8, s21
	s_cbranch_execz .LBB0_129
; %bb.461:                              ;   in Loop: Header=BB0_130 Depth=3
	s_mov_b32 s21, exec_lo
                                        ; implicit-def: $vgpr4
	v_cmpx_ne_u64_e32 0, v[54:55]
	s_xor_b32 s21, exec_lo, s21
; %bb.462:                              ;   in Loop: Header=BB0_130 Depth=3
	v_or_b32_e32 v4, 0x7f, v2
                                        ; implicit-def: $vgpr5
; %bb.463:                              ;   in Loop: Header=BB0_130 Depth=3
	s_and_not1_saveexec_b32 s21, s21
	s_cbranch_execz .LBB0_128
; %bb.464:                              ;   in Loop: Header=BB0_130 Depth=3
	v_cmp_lt_i32_e32 vcc_lo, -1, v5
	v_cndmask_b32_e32 v4, 0xfc, v58, vcc_lo
	s_branch .LBB0_128
.LBB0_465:                              ;   in Loop: Header=BB0_85 Depth=2
	s_or_b32 exec_lo, exec_lo, s20
	s_delay_alu instid0(SALU_CYCLE_1)
	s_or_b32 exec_lo, exec_lo, s19
	s_and_saveexec_b32 s8, s3
	s_cbranch_execz .LBB0_122
.LBB0_466:                              ;   in Loop: Header=BB0_85 Depth=2
	s_and_saveexec_b32 s19, s4
	s_delay_alu instid0(SALU_CYCLE_1)
	s_xor_b32 s19, exec_lo, s19
	s_cbranch_execz .LBB0_481
; %bb.467:                              ;   in Loop: Header=BB0_85 Depth=2
	s_and_saveexec_b32 s20, s5
	s_cbranch_execz .LBB0_480
; %bb.468:                              ;   in Loop: Header=BB0_85 Depth=2
	s_mov_b32 s22, exec_lo
	s_mov_b32 s21, exec_lo
	v_mbcnt_lo_u32_b32 v2, s22, 0
	global_wb scope:SCOPE_DEV
	s_wait_storecnt 0x0
	s_wait_loadcnt_dscnt 0x0
	global_inv scope:SCOPE_DEV
	v_cmpx_eq_u32_e32 0, v2
	s_cbranch_execz .LBB0_470
; %bb.469:                              ;   in Loop: Header=BB0_85 Depth=2
	s_bcnt1_i32_b32 s22, s22
	s_delay_alu instid0(SALU_CYCLE_1)
	v_mov_b32_e32 v54, s22
	s_wait_loadcnt 0x0
	ds_add_u64 v0, v[54:55]
	s_trap 2
.LBB0_470:                              ;   in Loop: Header=BB0_85 Depth=2
	s_or_b32 exec_lo, exec_lo, s21
	s_trap 2
	ds_load_b64 v[4:5], v0
	s_wait_dscnt 0x0
	v_add_nc_u64_e32 v[52:53], v[52:53], v[84:85]
	s_mov_b32 s21, exec_lo
	s_delay_alu instid0(VALU_DEP_1)
	v_cmpx_lt_u64_e64 v[4:5], v[52:53]
	s_cbranch_execz .LBB0_479
; %bb.471:                              ;   in Loop: Header=BB0_85 Depth=2
	s_mov_b32 s22, 0
	s_mov_b32 s25, 0
                                        ; implicit-def: $sgpr23
                                        ; implicit-def: $sgpr24
	s_branch .LBB0_473
.LBB0_472:                              ;   in Loop: Header=BB0_473 Depth=3
	s_or_b32 exec_lo, exec_lo, s27
	s_delay_alu instid0(SALU_CYCLE_1) | instskip(NEXT) | instid1(SALU_CYCLE_1)
	s_and_b32 s26, exec_lo, s28
	s_or_b32 s22, s26, s22
	s_and_not1_b32 s23, s23, exec_lo
	s_and_b32 s26, s24, exec_lo
	s_delay_alu instid0(SALU_CYCLE_1)
	s_or_b32 s23, s23, s26
	s_and_not1_b32 exec_lo, exec_lo, s22
	s_cbranch_execz .LBB0_477
.LBB0_473:                              ;   Parent Loop BB0_36 Depth=1
                                        ;     Parent Loop BB0_85 Depth=2
                                        ; =>    This Inner Loop Header: Depth=3
	s_add_co_i32 s25, s25, 1
	s_delay_alu instid0(SALU_CYCLE_1) | instskip(SKIP_1) | instid1(SALU_CYCLE_1)
	s_cmp_lg_u32 s25, 0x2710
	s_cselect_b32 s26, -1, 0
	s_and_b32 vcc_lo, exec_lo, s26
	s_cbranch_vccz .LBB0_475
; %bb.474:                              ;   in Loop: Header=BB0_473 Depth=3
	s_mov_b32 s28, -1
	s_or_b32 s24, s24, exec_lo
	s_and_saveexec_b32 s27, s26
	s_cbranch_execz .LBB0_472
	s_branch .LBB0_476
.LBB0_475:                              ;   in Loop: Header=BB0_473 Depth=3
	s_trap 2
	ds_load_b64 v[4:5], v0
	s_and_not1_b32 s26, s26, exec_lo
	s_mov_b32 s25, 0
	s_wait_loadcnt_dscnt 0x0
	flat_load_b32 v2, v[4:5] scope:SCOPE_SYS
	s_wait_loadcnt_dscnt 0x0
	global_inv scope:SCOPE_SYS
	v_cmp_eq_u32_e32 vcc_lo, 0, v2
	s_and_b32 s27, vcc_lo, exec_lo
	s_delay_alu instid0(SALU_CYCLE_1)
	s_or_b32 s26, s26, s27
	s_mov_b32 s28, -1
	s_or_b32 s24, s24, exec_lo
	s_and_saveexec_b32 s27, s26
	s_cbranch_execz .LBB0_472
.LBB0_476:                              ;   in Loop: Header=BB0_473 Depth=3
	s_sleep 1
	s_trap 2
	ds_load_b64 v[4:5], v0
	s_wait_dscnt 0x0
	s_and_not1_b32 s24, s24, exec_lo
	v_cmp_ge_u64_e32 vcc_lo, v[4:5], v[52:53]
	s_or_not1_b32 s28, vcc_lo, exec_lo
	s_branch .LBB0_472
.LBB0_477:                              ;   in Loop: Header=BB0_85 Depth=2
	s_or_b32 exec_lo, exec_lo, s22
	s_and_saveexec_b32 s22, s23
	s_delay_alu instid0(SALU_CYCLE_1)
	s_xor_b32 s22, exec_lo, s22
	s_cbranch_execz .LBB0_479
; %bb.478:                              ;   in Loop: Header=BB0_85 Depth=2
	ds_store_b32 v0, v1
	s_trap 2
.LBB0_479:                              ;   in Loop: Header=BB0_85 Depth=2
	s_or_b32 exec_lo, exec_lo, s21
	;;#ASMSTART
	s_wakeup
	;;#ASMEND
.LBB0_480:                              ;   in Loop: Header=BB0_85 Depth=2
	s_or_b32 exec_lo, exec_lo, s20
.LBB0_481:                              ;   in Loop: Header=BB0_85 Depth=2
	s_and_not1_saveexec_b32 s19, s19
	s_cbranch_execz .LBB0_483
; %bb.482:                              ;   in Loop: Header=BB0_85 Depth=2
	global_wb scope:SCOPE_DEV
	s_wait_storecnt 0x0
	s_wait_loadcnt_dscnt 0x0
	global_inv scope:SCOPE_DEV
	s_barrier_signal -1
	s_barrier_wait -1
.LBB0_483:                              ;   in Loop: Header=BB0_85 Depth=2
	s_or_b32 exec_lo, exec_lo, s19
	s_delay_alu instid0(SALU_CYCLE_1)
	s_or_b32 exec_lo, exec_lo, s8
	s_and_saveexec_b32 s8, s6
	s_cbranch_execnz .LBB0_123
	s_branch .LBB0_124
.LBB0_484:                              ;   in Loop: Header=BB0_36 Depth=1
	s_delay_alu instid0(VALU_DEP_1)
	v_mov_b64_e32 v[16:17], v[114:115]
	s_and_saveexec_b32 s8, s7
	s_cbranch_execnz .LBB0_487
; %bb.485:                              ;   in Loop: Header=BB0_36 Depth=1
	s_or_b32 exec_lo, exec_lo, s8
	s_and_saveexec_b32 s7, s3
	s_cbranch_execnz .LBB0_844
.LBB0_486:                              ;   in Loop: Header=BB0_36 Depth=1
	s_or_b32 exec_lo, exec_lo, s7
	s_and_saveexec_b32 s7, s6
	s_cbranch_execz .LBB0_35
	s_branch .LBB0_862
.LBB0_487:                              ;   in Loop: Header=BB0_36 Depth=1
	s_wait_loadcnt_dscnt 0x0
	flat_load_b32 v4, v[22:23]
	v_add_nc_u64_e32 v[2:3], v[10:11], v[112:113]
	v_dual_mov_b32 v116, v0 :: v_dual_bitop2_b32 v5, 7, v34 bitop3:0x40
	s_mov_b32 s18, 0
	v_add_nc_u32_e32 v42, 1, v34
	s_wait_loadcnt_dscnt 0x0
	s_delay_alu instid0(VALU_DEP_3) | instskip(SKIP_1) | instid1(VALU_DEP_2)
	v_mad_nc_u64_u32 v[2:3], v68, v4, v[2:3]
	v_ashrrev_i32_e32 v18, 31, v4
	v_mad_u32 v3, v69, v4, v3
	v_mul_lo_u32 v4, v5, s15
	s_delay_alu instid0(VALU_DEP_2) | instskip(NEXT) | instid1(VALU_DEP_2)
	v_mad_u32 v3, v68, v18, v3
	v_ashrrev_i32_e32 v5, 31, v4
	v_add_nc_u64_e32 v[18:19], v[8:9], v[112:113]
	s_delay_alu instid0(VALU_DEP_2) | instskip(NEXT) | instid1(VALU_DEP_4)
	v_lshl_add_u64 v[114:115], v[4:5], 4, v[32:33]
	v_add_nc_u64_e32 v[112:113], v[2:3], v[82:83]
	s_branch .LBB0_489
.LBB0_488:                              ;   in Loop: Header=BB0_489 Depth=2
	v_sub_nc_u32_e32 v60, v60, v86
	v_add_nc_u64_e32 v[112:113], v[112:113], v[86:87]
	s_wait_xcnt 0x0
	v_add_nc_u64_e32 v[18:19], v[18:19], v[86:87]
	v_add_nc_u32_e32 v116, v116, v20
	v_cmp_gt_i32_e32 vcc_lo, 1, v60
	s_or_b32 s18, vcc_lo, s18
	s_delay_alu instid0(SALU_CYCLE_1)
	s_and_not1_b32 exec_lo, exec_lo, s18
	s_cbranch_execz .LBB0_843
.LBB0_489:                              ;   Parent Loop BB0_36 Depth=1
                                        ; =>  This Loop Header: Depth=2
                                        ;       Child Loop BB0_497 Depth 3
	s_delay_alu instid0(VALU_DEP_1)
	v_dual_mov_b32 v3, v113 :: v_dual_bitop2_b32 v2, -4, v112 bitop3:0x40
	v_min_u32_e32 v4, 8, v60
	v_dual_mov_b32 v44, 0 :: v_dual_bitop2_b32 v5, 3, v112 bitop3:0x40
	v_mov_b32_e32 v45, 0
	global_load_b32 v30, v[2:3], off th:TH_LOAD_NT
	s_mov_b32 s7, exec_lo
	v_add_nc_u32_e32 v54, v5, v4
	s_wait_xcnt 0x0
	s_delay_alu instid0(VALU_DEP_1)
	v_cmpx_lt_u32_e32 4, v54
	s_cbranch_execz .LBB0_491
; %bb.490:                              ;   in Loop: Header=BB0_489 Depth=2
	global_load_b32 v45, v[2:3], off offset:4 th:TH_LOAD_NT
.LBB0_491:                              ;   in Loop: Header=BB0_489 Depth=2
	s_wait_xcnt 0x0
	s_or_b32 exec_lo, exec_lo, s7
	s_delay_alu instid0(SALU_CYCLE_1)
	s_mov_b32 s7, exec_lo
	v_cmpx_lt_u64_e32 8, v[54:55]
	s_cbranch_execz .LBB0_493
; %bb.492:                              ;   in Loop: Header=BB0_489 Depth=2
	global_load_b32 v44, v[2:3], off offset:8 th:TH_LOAD_NT
.LBB0_493:                              ;   in Loop: Header=BB0_489 Depth=2
	s_wait_xcnt 0x0
	s_or_b32 exec_lo, exec_lo, s7
	v_ashrrev_i32_e32 v117, 31, v116
	s_mov_b32 s19, exec_lo
	s_delay_alu instid0(VALU_DEP_1)
	v_lshl_add_u64 v[118:119], v[116:117], 4, v[114:115]
	global_load_b128 v[2:5], v[118:119], off th:TH_LOAD_NT
	s_wait_xcnt 0x0
	v_cmpx_eq_u32_e32 0, v59
	s_cbranch_execz .LBB0_505
; %bb.494:                              ;   in Loop: Header=BB0_489 Depth=2
	s_wait_loadcnt 0x0
	v_cmp_ne_u32_e32 vcc_lo, v42, v3
	v_cmp_ne_u32_e64 s7, v42, v5
	v_mov_b32_e32 v59, 0
	s_or_b32 s7, vcc_lo, s7
	s_delay_alu instid0(SALU_CYCLE_1)
	s_and_saveexec_b32 s20, s7
	s_cbranch_execz .LBB0_504
; %bb.495:                              ;   in Loop: Header=BB0_489 Depth=2
	s_mov_b32 s24, 1
	s_mov_b32 s22, 0
                                        ; implicit-def: $sgpr21
                                        ; implicit-def: $sgpr23
	s_branch .LBB0_497
.LBB0_496:                              ;   in Loop: Header=BB0_497 Depth=3
	s_or_b32 exec_lo, exec_lo, s26
	s_delay_alu instid0(SALU_CYCLE_1) | instskip(NEXT) | instid1(SALU_CYCLE_1)
	s_and_b32 s7, exec_lo, s7
	s_or_b32 s22, s7, s22
	s_and_not1_b32 s7, s21, exec_lo
	s_and_b32 s21, s23, exec_lo
	s_delay_alu instid0(SALU_CYCLE_1)
	s_or_b32 s21, s7, s21
	s_and_not1_b32 exec_lo, exec_lo, s22
	s_cbranch_execz .LBB0_501
.LBB0_497:                              ;   Parent Loop BB0_36 Depth=1
                                        ;     Parent Loop BB0_489 Depth=2
                                        ; =>    This Inner Loop Header: Depth=3
	s_wait_loadcnt 0x0
	global_load_b128 v[2:5], v[118:119], off th:TH_LOAD_NT
	s_add_co_i32 s24, s24, 1
	s_mov_b32 s7, -1
	s_cmp_lg_u32 s24, 0x2710
	s_mov_b32 s25, -1
                                        ; implicit-def: $vgpr54
	s_cbranch_scc0 .LBB0_499
; %bb.498:                              ;   in Loop: Header=BB0_497 Depth=3
	s_or_b32 s23, s23, exec_lo
	s_wait_xcnt 0x0
	s_and_saveexec_b32 s26, s25
	s_cbranch_execz .LBB0_496
	s_branch .LBB0_500
.LBB0_499:                              ;   in Loop: Header=BB0_497 Depth=3
	s_trap 2
	ds_load_b64 v[40:41], v0
	s_mov_b32 s24, 0
	s_wait_storecnt 0x0
	s_wait_loadcnt_dscnt 0x0
	flat_load_b32 v54, v[40:41] scope:SCOPE_SYS
	s_wait_loadcnt_dscnt 0x0
	global_inv scope:SCOPE_SYS
	v_cmp_eq_u32_e32 vcc_lo, 0, v54
	s_or_not1_b32 s25, vcc_lo, exec_lo
	s_or_b32 s23, s23, exec_lo
	s_wait_xcnt 0x0
	s_and_saveexec_b32 s26, s25
	s_cbranch_execz .LBB0_496
.LBB0_500:                              ;   in Loop: Header=BB0_497 Depth=3
	s_wait_loadcnt 0x0
	v_cmp_eq_u32_e32 vcc_lo, v42, v3
	v_cmp_eq_u32_e64 s7, v42, v5
	s_and_not1_b32 s23, s23, exec_lo
	s_and_b32 s7, vcc_lo, s7
	s_delay_alu instid0(SALU_CYCLE_1)
	s_or_not1_b32 s7, s7, exec_lo
	s_branch .LBB0_496
.LBB0_501:                              ;   in Loop: Header=BB0_489 Depth=2
	s_or_b32 exec_lo, exec_lo, s22
	v_mov_b32_e32 v59, 0
	s_and_saveexec_b32 s7, s21
	s_delay_alu instid0(SALU_CYCLE_1)
	s_xor_b32 s7, exec_lo, s7
	s_cbranch_execz .LBB0_503
; %bb.502:                              ;   in Loop: Header=BB0_489 Depth=2
	v_mov_b32_e32 v59, 1
	s_wait_loadcnt 0x0
	s_wait_storecnt 0x0
	ds_store_b32 v0, v54
	s_trap 2
.LBB0_503:                              ;   in Loop: Header=BB0_489 Depth=2
	s_or_b32 exec_lo, exec_lo, s7
.LBB0_504:                              ;   in Loop: Header=BB0_489 Depth=2
	s_delay_alu instid0(SALU_CYCLE_1)
	s_or_b32 exec_lo, exec_lo, s20
.LBB0_505:                              ;   in Loop: Header=BB0_489 Depth=2
	s_delay_alu instid0(SALU_CYCLE_1) | instskip(SKIP_4) | instid1(VALU_DEP_2)
	s_or_b32 exec_lo, exec_lo, s19
	s_wait_loadcnt 0x0
	v_and_b32_e32 v54, 0xff, v2
	v_dual_mov_b32 v117, 0 :: v_dual_mov_b32 v118, 0
	s_mov_b32 s7, exec_lo
	v_cmpx_ne_u16_e32 0, v54
	s_cbranch_execz .LBB0_515
; %bb.506:                              ;   in Loop: Header=BB0_489 Depth=2
	v_bfe_i32 v119, v2, 0, 8
	v_bfrev_b32_e32 v118, 1
	s_mov_b32 s19, exec_lo
	s_delay_alu instid0(VALU_DEP_2)
	v_cmpx_ne_u16_e32 0xff80, v119
	s_cbranch_execz .LBB0_514
; %bb.507:                              ;   in Loop: Header=BB0_489 Depth=2
	v_and_b32_e32 v118, 0x7c, v2
	v_and_b32_e32 v54, 3, v2
	s_delay_alu instid0(VALU_DEP_2) | instskip(SKIP_1) | instid1(SALU_CYCLE_1)
	v_cmp_ne_u32_e32 vcc_lo, 0x7c, v118
                                        ; implicit-def: $vgpr118
	s_and_saveexec_b32 s20, vcc_lo
	s_xor_b32 s20, exec_lo, s20
	s_cbranch_execz .LBB0_511
; %bb.508:                              ;   in Loop: Header=BB0_489 Depth=2
	v_bfe_u32 v118, v2, 2, 5
	s_mov_b32 s21, exec_lo
	s_delay_alu instid0(VALU_DEP_1)
	v_cmpx_eq_u32_e32 0, v118
; %bb.509:                              ;   in Loop: Header=BB0_489 Depth=2
	v_clz_i32_u32_e32 v54, v54
	s_delay_alu instid0(VALU_DEP_1) | instskip(NEXT) | instid1(VALU_DEP_1)
	v_min_u32_e32 v54, 32, v54
	v_subrev_nc_u32_e32 v118, 29, v54
	s_delay_alu instid0(VALU_DEP_1) | instskip(NEXT) | instid1(VALU_DEP_1)
	v_lshlrev_b64_e32 v[40:41], v118, v[2:3]
	v_dual_sub_nc_u32 v118, 30, v54 :: v_dual_bitop2_b32 v54, 3, v40 bitop3:0x40
; %bb.510:                              ;   in Loop: Header=BB0_489 Depth=2
	s_or_b32 exec_lo, exec_lo, s21
	v_lshlrev_b32_e32 v3, 24, v2
                                        ; implicit-def: $vgpr119
	s_delay_alu instid0(VALU_DEP_1) | instskip(NEXT) | instid1(VALU_DEP_1)
	v_and_b32_e32 v3, 0x80000000, v3
	v_lshl_add_u32 v3, v118, 23, v3
	s_delay_alu instid0(VALU_DEP_1) | instskip(NEXT) | instid1(VALU_DEP_1)
	v_lshl_or_b32 v3, v54, 21, v3
                                        ; implicit-def: $vgpr54
	v_add_nc_u32_e32 v118, 0x38000000, v3
.LBB0_511:                              ;   in Loop: Header=BB0_489 Depth=2
	s_and_not1_saveexec_b32 s20, s20
; %bb.512:                              ;   in Loop: Header=BB0_489 Depth=2
	v_cmp_lt_i16_e32 vcc_lo, -1, v119
	v_cndmask_b32_e32 v3, 0xff800000, v21, vcc_lo
	v_cmp_eq_u32_e32 vcc_lo, 0, v54
	s_delay_alu instid0(VALU_DEP_2)
	v_cndmask_b32_e32 v118, 0x7f800001, v3, vcc_lo
; %bb.513:                              ;   in Loop: Header=BB0_489 Depth=2
	s_or_b32 exec_lo, exec_lo, s20
.LBB0_514:                              ;   in Loop: Header=BB0_489 Depth=2
	s_delay_alu instid0(SALU_CYCLE_1)
	s_or_b32 exec_lo, exec_lo, s19
.LBB0_515:                              ;   in Loop: Header=BB0_489 Depth=2
	s_delay_alu instid0(SALU_CYCLE_1) | instskip(SKIP_2) | instid1(VALU_DEP_1)
	s_or_b32 exec_lo, exec_lo, s7
	v_lshlrev_b32_e32 v46, 3, v112
	s_mov_b32 s7, exec_lo
	v_alignbit_b32 v54, v45, v30, v46
	s_delay_alu instid0(VALU_DEP_1) | instskip(NEXT) | instid1(VALU_DEP_1)
	v_and_b32_e32 v3, 0xff, v54
	v_cmpx_ne_u16_e32 0, v3
	s_cbranch_execz .LBB0_525
; %bb.516:                              ;   in Loop: Header=BB0_489 Depth=2
	v_bfe_i32 v30, v54, 0, 8
	v_bfrev_b32_e32 v117, 1
	s_mov_b32 s19, exec_lo
	s_delay_alu instid0(VALU_DEP_2)
	v_cmpx_ne_u16_e32 0xff80, v30
	s_cbranch_execz .LBB0_524
; %bb.517:                              ;   in Loop: Header=BB0_489 Depth=2
	v_and_b32_e32 v117, 0x7c, v54
	v_and_b32_e32 v3, 3, v54
	s_delay_alu instid0(VALU_DEP_2) | instskip(SKIP_1) | instid1(SALU_CYCLE_1)
	v_cmp_ne_u32_e32 vcc_lo, 0x7c, v117
                                        ; implicit-def: $vgpr117
	s_and_saveexec_b32 s20, vcc_lo
	s_xor_b32 s20, exec_lo, s20
	s_cbranch_execz .LBB0_521
; %bb.518:                              ;   in Loop: Header=BB0_489 Depth=2
	v_bfe_u32 v30, v54, 2, 5
	s_mov_b32 s21, exec_lo
	s_delay_alu instid0(VALU_DEP_1)
	v_cmpx_eq_u32_e32 0, v30
; %bb.519:                              ;   in Loop: Header=BB0_489 Depth=2
	v_clz_i32_u32_e32 v3, v3
	s_delay_alu instid0(VALU_DEP_1) | instskip(NEXT) | instid1(VALU_DEP_1)
	v_min_u32_e32 v3, 32, v3
	v_subrev_nc_u32_e32 v30, 29, v3
	s_delay_alu instid0(VALU_DEP_1) | instskip(NEXT) | instid1(VALU_DEP_1)
	v_lshlrev_b64_e32 v[40:41], v30, v[54:55]
	v_dual_sub_nc_u32 v30, 30, v3 :: v_dual_bitop2_b32 v3, 3, v40 bitop3:0x40
; %bb.520:                              ;   in Loop: Header=BB0_489 Depth=2
	s_or_b32 exec_lo, exec_lo, s21
	v_lshlrev_b32_e32 v117, 24, v54
	s_delay_alu instid0(VALU_DEP_1) | instskip(NEXT) | instid1(VALU_DEP_1)
	v_and_b32_e32 v117, 0x80000000, v117
	v_lshl_add_u32 v30, v30, 23, v117
	s_delay_alu instid0(VALU_DEP_1) | instskip(NEXT) | instid1(VALU_DEP_1)
	v_lshl_or_b32 v3, v3, 21, v30
                                        ; implicit-def: $vgpr30
	v_add_nc_u32_e32 v117, 0x38000000, v3
                                        ; implicit-def: $vgpr3
.LBB0_521:                              ;   in Loop: Header=BB0_489 Depth=2
	s_and_not1_saveexec_b32 s20, s20
; %bb.522:                              ;   in Loop: Header=BB0_489 Depth=2
	v_cmp_lt_i16_e32 vcc_lo, -1, v30
	v_cndmask_b32_e32 v30, 0xff800000, v21, vcc_lo
	v_cmp_eq_u32_e32 vcc_lo, 0, v3
	s_delay_alu instid0(VALU_DEP_2)
	v_cndmask_b32_e32 v117, 0x7f800001, v30, vcc_lo
; %bb.523:                              ;   in Loop: Header=BB0_489 Depth=2
	s_or_b32 exec_lo, exec_lo, s20
.LBB0_524:                              ;   in Loop: Header=BB0_489 Depth=2
	s_delay_alu instid0(SALU_CYCLE_1)
	s_or_b32 exec_lo, exec_lo, s19
.LBB0_525:                              ;   in Loop: Header=BB0_489 Depth=2
	s_delay_alu instid0(SALU_CYCLE_1) | instskip(NEXT) | instid1(VALU_DEP_1)
	s_or_b32 exec_lo, exec_lo, s7
	v_dual_mul_f32 v30, v118, v117 :: v_dual_mov_b32 v41, v55
	v_mov_b32_e32 v119, v55
                                        ; implicit-def: $vgpr117
	s_mov_b32 s7, exec_lo
	s_delay_alu instid0(VALU_DEP_2) | instskip(SKIP_2) | instid1(VALU_DEP_3)
	v_and_b32_e32 v40, 0x7f800000, v30
	v_and_b32_e32 v118, 0x7fffff, v30
	v_lshrrev_b32_e32 v3, 24, v30
	v_cmpx_ne_u64_e32 0x7f800000, v[40:41]
	s_xor_b32 s19, exec_lo, s7
	s_cbranch_execz .LBB0_539
; %bb.526:                              ;   in Loop: Header=BB0_489 Depth=2
	v_and_b32_e32 v40, 0x7fffffff, v30
	v_mov_b32_e32 v41, v55
	v_and_b32_e32 v3, 0x80, v3
                                        ; implicit-def: $vgpr117
	s_mov_b32 s7, exec_lo
	s_delay_alu instid0(VALU_DEP_2)
	v_cmpx_gt_u64_e32 0x47600001, v[40:41]
	s_xor_b32 s20, exec_lo, s7
	s_cbranch_execz .LBB0_536
; %bb.527:                              ;   in Loop: Header=BB0_489 Depth=2
	v_mov_b32_e32 v117, 0
	s_mov_b32 s21, exec_lo
	v_cmpx_ne_u32_e32 0, v30
	s_cbranch_execz .LBB0_535
; %bb.528:                              ;   in Loop: Header=BB0_489 Depth=2
	v_bfe_u32 v30, v30, 23, 8
	v_or_b32_e32 v43, 0x800000, v118
	s_delay_alu instid0(VALU_DEP_2) | instskip(SKIP_1) | instid1(VALU_DEP_2)
	v_sub_nc_u32_e32 v117, 0x71, v30
	v_cmp_gt_u32_e32 vcc_lo, 0x72, v30
	v_cndmask_b32_e32 v117, 0, v117, vcc_lo
	v_cmp_eq_u32_e32 vcc_lo, 0, v30
	v_cndmask_b32_e32 v118, v43, v118, vcc_lo
	s_delay_alu instid0(VALU_DEP_3) | instskip(NEXT) | instid1(VALU_DEP_1)
	v_cndmask_b32_e64 v117, v117, 0x70, vcc_lo
	v_dual_add_nc_u32 v40, 21, v117 :: v_dual_add_nc_u32 v47, 20, v117
	s_delay_alu instid0(VALU_DEP_1) | instskip(NEXT) | instid1(VALU_DEP_2)
	v_lshlrev_b64_e64 v[40:41], v40, -1
	v_lshlrev_b64_e64 v[62:63], v47, 1
	s_delay_alu instid0(VALU_DEP_2) | instskip(SKIP_1) | instid1(VALU_DEP_4)
	v_bfi_b32 v40, v40, 0, v118
	v_lshrrev_b64 v[118:119], v117, v[118:119]
	v_bfi_b32 v41, v41, 0, 0
	s_delay_alu instid0(VALU_DEP_1) | instskip(NEXT) | instid1(VALU_DEP_3)
	v_cmp_eq_u64_e64 s7, v[40:41], v[62:63]
	v_mov_b64_e32 v[40:41], v[118:119]
	s_and_saveexec_b32 s22, s7
; %bb.529:                              ;   in Loop: Header=BB0_489 Depth=2
	v_bfe_u32 v40, v118, 21, 1
	v_mov_b32_e32 v41, v55
	s_delay_alu instid0(VALU_DEP_1) | instskip(NEXT) | instid1(VALU_DEP_1)
	v_add_nc_u64_e32 v[40:41], v[118:119], v[40:41]
	v_add_nc_u64_e32 v[40:41], -1, v[40:41]
; %bb.530:                              ;   in Loop: Header=BB0_489 Depth=2
	s_or_b32 exec_lo, exec_lo, s22
	v_add_nc_u32_e32 v30, 0xffffff81, v30
	v_lshrrev_b32_e32 v119, 23, v118
	s_mov_b32 s7, exec_lo
	s_delay_alu instid0(VALU_DEP_2) | instskip(NEXT) | instid1(VALU_DEP_1)
	v_cndmask_b32_e64 v30, v30, 0xffffff82, vcc_lo
	v_add3_u32 v117, v117, v30, v119
	v_and_b32_e32 v30, 0x1fffff, v40
	s_delay_alu instid0(VALU_DEP_2) | instskip(NEXT) | instid1(VALU_DEP_2)
	v_dual_mov_b32 v119, v55 :: v_dual_add_nc_u32 v40, 14, v117
	v_add_nc_u32_e32 v118, v30, v118
                                        ; implicit-def: $vgpr30
	s_delay_alu instid0(VALU_DEP_2)
	v_cmpx_ne_u32_e32 0, v40
	s_xor_b32 s7, exec_lo, s7
; %bb.531:                              ;   in Loop: Header=BB0_489 Depth=2
	s_delay_alu instid0(VALU_DEP_2) | instskip(SKIP_2) | instid1(VALU_DEP_2)
	v_cmp_lt_u64_e32 vcc_lo, 0xffffff, v[118:119]
	v_add_nc_u32_e32 v30, 15, v117
	v_cndmask_b32_e64 v117, 0, 1, vcc_lo
	v_cndmask_b32_e32 v30, v40, v30, vcc_lo
	s_delay_alu instid0(VALU_DEP_2)
	v_lshrrev_b64 v[118:119], v117, v[118:119]
; %bb.532:                              ;   in Loop: Header=BB0_489 Depth=2
	s_and_not1_saveexec_b32 s7, s7
; %bb.533:                              ;   in Loop: Header=BB0_489 Depth=2
	s_delay_alu instid0(VALU_DEP_1)
	v_bfe_u32 v30, v118, 23, 1
; %bb.534:                              ;   in Loop: Header=BB0_489 Depth=2
	s_or_b32 exec_lo, exec_lo, s7
	s_delay_alu instid0(VALU_DEP_2) | instskip(NEXT) | instid1(VALU_DEP_2)
	v_lshrrev_b64 v[118:119], 21, v[118:119]
	v_cmp_gt_i32_e32 vcc_lo, 32, v30
	v_min_i32_e32 v117, 31, v30
	v_cmp_eq_u32_e64 s7, 0, v30
	s_delay_alu instid0(VALU_DEP_2) | instskip(SKIP_1) | instid1(VALU_DEP_2)
	v_dual_cndmask_b32 v119, 0, v119, vcc_lo :: v_dual_lshlrev_b32 v117, 2, v117
	v_cndmask_b32_e32 v118, 3, v118, vcc_lo
	v_and_b32_e32 v117, 0xfc, v117
	s_delay_alu instid0(VALU_DEP_2) | instskip(NEXT) | instid1(VALU_DEP_2)
	v_cmp_eq_u64_e32 vcc_lo, 0, v[118:119]
	v_and_or_b32 v30, v118, 3, v117
	s_and_b32 s7, s7, vcc_lo
	s_delay_alu instid0(VALU_DEP_1) | instid1(SALU_CYCLE_1)
	v_cndmask_b32_e64 v30, v30, 0, s7
	s_delay_alu instid0(VALU_DEP_1)
	v_or_b32_e32 v117, v30, v3
.LBB0_535:                              ;   in Loop: Header=BB0_489 Depth=2
	s_or_b32 exec_lo, exec_lo, s21
                                        ; implicit-def: $vgpr3
.LBB0_536:                              ;   in Loop: Header=BB0_489 Depth=2
	s_and_not1_saveexec_b32 s7, s20
; %bb.537:                              ;   in Loop: Header=BB0_489 Depth=2
	v_or_b32_e32 v117, 0x7b, v3
; %bb.538:                              ;   in Loop: Header=BB0_489 Depth=2
	s_or_b32 exec_lo, exec_lo, s7
                                        ; implicit-def: $vgpr30
                                        ; implicit-def: $vgpr118_vgpr119
                                        ; implicit-def: $vgpr3
.LBB0_539:                              ;   in Loop: Header=BB0_489 Depth=2
	s_and_not1_saveexec_b32 s7, s19
	s_cbranch_execz .LBB0_545
; %bb.540:                              ;   in Loop: Header=BB0_489 Depth=2
	s_mov_b32 s19, exec_lo
                                        ; implicit-def: $vgpr117
	v_cmpx_ne_u64_e32 0, v[118:119]
	s_xor_b32 s19, exec_lo, s19
; %bb.541:                              ;   in Loop: Header=BB0_489 Depth=2
	v_or_b32_e32 v117, 0x7f, v3
                                        ; implicit-def: $vgpr30
; %bb.542:                              ;   in Loop: Header=BB0_489 Depth=2
	s_and_not1_saveexec_b32 s19, s19
; %bb.543:                              ;   in Loop: Header=BB0_489 Depth=2
	v_cmp_lt_i32_e32 vcc_lo, -1, v30
	v_cndmask_b32_e32 v117, 0xfc, v58, vcc_lo
; %bb.544:                              ;   in Loop: Header=BB0_489 Depth=2
	s_or_b32 exec_lo, exec_lo, s19
.LBB0_545:                              ;   in Loop: Header=BB0_489 Depth=2
	s_delay_alu instid0(SALU_CYCLE_1) | instskip(SKIP_3) | instid1(VALU_DEP_2)
	s_or_b32 exec_lo, exec_lo, s7
	v_lshrrev_b16 v118, 8, v2
	v_dual_mov_b32 v3, 0 :: v_dual_mov_b32 v30, 0
	s_mov_b32 s7, exec_lo
	v_cmpx_ne_u16_e32 0, v118
	s_cbranch_execz .LBB0_555
; %bb.546:                              ;   in Loop: Header=BB0_489 Depth=2
	v_bfrev_b32_e32 v30, 1
	s_mov_b32 s19, exec_lo
	v_cmpx_ne_u16_e32 0x80, v118
	s_cbranch_execz .LBB0_554
; %bb.547:                              ;   in Loop: Header=BB0_489 Depth=2
	v_and_b32_e32 v40, 0xffff, v118
	s_delay_alu instid0(VALU_DEP_1) | instskip(SKIP_1) | instid1(VALU_DEP_2)
	v_and_b32_e32 v30, 0x7c, v40
	v_and_b32_e32 v119, 3, v40
	v_cmp_ne_u32_e32 vcc_lo, 0x7c, v30
                                        ; implicit-def: $vgpr30
	s_and_saveexec_b32 s20, vcc_lo
	s_delay_alu instid0(SALU_CYCLE_1)
	s_xor_b32 s20, exec_lo, s20
	s_cbranch_execz .LBB0_551
; %bb.548:                              ;   in Loop: Header=BB0_489 Depth=2
	v_bfe_u32 v30, v40, 2, 5
	s_mov_b32 s21, exec_lo
	s_delay_alu instid0(VALU_DEP_1)
	v_cmpx_eq_u32_e32 0, v30
	s_cbranch_execz .LBB0_550
; %bb.549:                              ;   in Loop: Header=BB0_489 Depth=2
	v_clz_i32_u32_e32 v30, v119
	s_delay_alu instid0(VALU_DEP_1) | instskip(SKIP_1) | instid1(VALU_DEP_2)
	v_min_u32_e32 v30, 32, v30
	v_mov_b32_e32 v119, v55
	v_subrev_nc_u32_e32 v40, 29, v30
	v_sub_nc_u32_e32 v30, 30, v30
	s_delay_alu instid0(VALU_DEP_2) | instskip(NEXT) | instid1(VALU_DEP_1)
	v_lshlrev_b64_e32 v[118:119], v40, v[118:119]
	v_and_b32_e32 v119, 3, v118
.LBB0_550:                              ;   in Loop: Header=BB0_489 Depth=2
	s_or_b32 exec_lo, exec_lo, s21
	v_lshlrev_b32_e32 v118, 16, v2
	s_delay_alu instid0(VALU_DEP_1) | instskip(NEXT) | instid1(VALU_DEP_1)
	v_and_b32_e32 v118, 0x80000000, v118
	v_lshl_add_u32 v30, v30, 23, v118
	s_delay_alu instid0(VALU_DEP_1) | instskip(NEXT) | instid1(VALU_DEP_1)
	v_lshl_or_b32 v30, v119, 21, v30
                                        ; implicit-def: $vgpr119
	v_add_nc_u32_e32 v30, 0x38000000, v30
.LBB0_551:                              ;   in Loop: Header=BB0_489 Depth=2
	s_and_not1_saveexec_b32 s20, s20
; %bb.552:                              ;   in Loop: Header=BB0_489 Depth=2
	v_cmp_lt_i16_e32 vcc_lo, -1, v2
	v_cndmask_b32_e32 v30, 0xff800000, v21, vcc_lo
	v_cmp_eq_u32_e32 vcc_lo, 0, v119
	s_delay_alu instid0(VALU_DEP_2)
	v_cndmask_b32_e32 v30, 0x7f800001, v30, vcc_lo
; %bb.553:                              ;   in Loop: Header=BB0_489 Depth=2
	s_or_b32 exec_lo, exec_lo, s20
.LBB0_554:                              ;   in Loop: Header=BB0_489 Depth=2
	s_delay_alu instid0(SALU_CYCLE_1)
	s_or_b32 exec_lo, exec_lo, s19
.LBB0_555:                              ;   in Loop: Header=BB0_489 Depth=2
	s_delay_alu instid0(SALU_CYCLE_1) | instskip(SKIP_2) | instid1(VALU_DEP_1)
	s_or_b32 exec_lo, exec_lo, s7
	v_lshrrev_b16 v118, 8, v54
	s_mov_b32 s7, exec_lo
	v_cmpx_ne_u16_e32 0, v118
	s_cbranch_execz .LBB0_565
; %bb.556:                              ;   in Loop: Header=BB0_489 Depth=2
	v_bfrev_b32_e32 v3, 1
	s_mov_b32 s19, exec_lo
	v_cmpx_ne_u16_e32 0x80, v118
	s_cbranch_execz .LBB0_564
; %bb.557:                              ;   in Loop: Header=BB0_489 Depth=2
	v_and_b32_e32 v40, 0xffff, v118
	s_delay_alu instid0(VALU_DEP_1) | instskip(SKIP_1) | instid1(VALU_DEP_2)
	v_and_b32_e32 v3, 0x7c, v40
	v_and_b32_e32 v119, 3, v40
	v_cmp_ne_u32_e32 vcc_lo, 0x7c, v3
                                        ; implicit-def: $vgpr3
	s_and_saveexec_b32 s20, vcc_lo
	s_delay_alu instid0(SALU_CYCLE_1)
	s_xor_b32 s20, exec_lo, s20
	s_cbranch_execz .LBB0_561
; %bb.558:                              ;   in Loop: Header=BB0_489 Depth=2
	v_bfe_u32 v3, v40, 2, 5
	s_mov_b32 s21, exec_lo
	s_delay_alu instid0(VALU_DEP_1)
	v_cmpx_eq_u32_e32 0, v3
	s_cbranch_execz .LBB0_560
; %bb.559:                              ;   in Loop: Header=BB0_489 Depth=2
	v_clz_i32_u32_e32 v3, v119
	s_delay_alu instid0(VALU_DEP_1) | instskip(SKIP_1) | instid1(VALU_DEP_2)
	v_min_u32_e32 v3, 32, v3
	v_mov_b32_e32 v119, v55
	v_subrev_nc_u32_e32 v40, 29, v3
	v_sub_nc_u32_e32 v3, 30, v3
	s_delay_alu instid0(VALU_DEP_2) | instskip(NEXT) | instid1(VALU_DEP_1)
	v_lshlrev_b64_e32 v[118:119], v40, v[118:119]
	v_and_b32_e32 v119, 3, v118
.LBB0_560:                              ;   in Loop: Header=BB0_489 Depth=2
	s_or_b32 exec_lo, exec_lo, s21
	v_lshlrev_b32_e32 v118, 16, v54
	s_delay_alu instid0(VALU_DEP_1) | instskip(NEXT) | instid1(VALU_DEP_1)
	v_and_b32_e32 v118, 0x80000000, v118
	v_lshl_add_u32 v3, v3, 23, v118
	s_delay_alu instid0(VALU_DEP_1) | instskip(NEXT) | instid1(VALU_DEP_1)
	v_lshl_or_b32 v3, v119, 21, v3
                                        ; implicit-def: $vgpr119
	v_add_nc_u32_e32 v3, 0x38000000, v3
.LBB0_561:                              ;   in Loop: Header=BB0_489 Depth=2
	s_and_not1_saveexec_b32 s20, s20
; %bb.562:                              ;   in Loop: Header=BB0_489 Depth=2
	v_cmp_lt_i16_e32 vcc_lo, -1, v54
	v_cndmask_b32_e32 v3, 0xff800000, v21, vcc_lo
	v_cmp_eq_u32_e32 vcc_lo, 0, v119
	s_delay_alu instid0(VALU_DEP_2)
	v_cndmask_b32_e32 v3, 0x7f800001, v3, vcc_lo
; %bb.563:                              ;   in Loop: Header=BB0_489 Depth=2
	s_or_b32 exec_lo, exec_lo, s20
.LBB0_564:                              ;   in Loop: Header=BB0_489 Depth=2
	s_delay_alu instid0(SALU_CYCLE_1)
	s_or_b32 exec_lo, exec_lo, s19
.LBB0_565:                              ;   in Loop: Header=BB0_489 Depth=2
	s_delay_alu instid0(SALU_CYCLE_1) | instskip(NEXT) | instid1(VALU_DEP_1)
	s_or_b32 exec_lo, exec_lo, s7
	v_dual_mul_f32 v30, v30, v3 :: v_dual_mov_b32 v41, v55
	v_mov_b32_e32 v119, v55
                                        ; implicit-def: $vgpr43
	s_mov_b32 s7, exec_lo
	s_delay_alu instid0(VALU_DEP_2) | instskip(SKIP_2) | instid1(VALU_DEP_3)
	v_and_b32_e32 v40, 0x7f800000, v30
	v_and_b32_e32 v118, 0x7fffff, v30
	v_lshrrev_b32_e32 v3, 24, v30
	v_cmpx_ne_u64_e32 0x7f800000, v[40:41]
	s_xor_b32 s19, exec_lo, s7
	s_cbranch_execz .LBB0_579
; %bb.566:                              ;   in Loop: Header=BB0_489 Depth=2
	v_and_b32_e32 v40, 0x7fffffff, v30
	v_mov_b32_e32 v41, v55
	v_and_b32_e32 v3, 0x80, v3
                                        ; implicit-def: $vgpr43
	s_mov_b32 s7, exec_lo
	s_delay_alu instid0(VALU_DEP_2)
	v_cmpx_gt_u64_e32 0x47600001, v[40:41]
	s_xor_b32 s20, exec_lo, s7
	s_cbranch_execz .LBB0_576
; %bb.567:                              ;   in Loop: Header=BB0_489 Depth=2
	v_mov_b32_e32 v43, 0
	s_mov_b32 s21, exec_lo
	v_cmpx_ne_u32_e32 0, v30
	s_cbranch_execz .LBB0_575
; %bb.568:                              ;   in Loop: Header=BB0_489 Depth=2
	v_bfe_u32 v30, v30, 23, 8
	v_or_b32_e32 v47, 0x800000, v118
	s_delay_alu instid0(VALU_DEP_2) | instskip(SKIP_1) | instid1(VALU_DEP_2)
	v_sub_nc_u32_e32 v40, 0x71, v30
	v_cmp_gt_u32_e32 vcc_lo, 0x72, v30
	v_cndmask_b32_e32 v40, 0, v40, vcc_lo
	v_cmp_eq_u32_e32 vcc_lo, 0, v30
	s_delay_alu instid0(VALU_DEP_2) | instskip(NEXT) | instid1(VALU_DEP_1)
	v_cndmask_b32_e64 v43, v40, 0x70, vcc_lo
	v_dual_cndmask_b32 v118, v47, v118, vcc_lo :: v_dual_add_nc_u32 v40, 21, v43
	v_add_nc_u32_e32 v61, 20, v43
	s_delay_alu instid0(VALU_DEP_2) | instskip(NEXT) | instid1(VALU_DEP_2)
	v_lshlrev_b64_e64 v[40:41], v40, -1
	v_lshlrev_b64_e64 v[62:63], v61, 1
	s_delay_alu instid0(VALU_DEP_2) | instskip(SKIP_1) | instid1(VALU_DEP_4)
	v_bfi_b32 v40, v40, 0, v118
	v_lshrrev_b64 v[118:119], v43, v[118:119]
	v_bfi_b32 v41, v41, 0, 0
	s_delay_alu instid0(VALU_DEP_1) | instskip(NEXT) | instid1(VALU_DEP_3)
	v_cmp_eq_u64_e64 s7, v[40:41], v[62:63]
	v_mov_b64_e32 v[40:41], v[118:119]
	s_and_saveexec_b32 s22, s7
; %bb.569:                              ;   in Loop: Header=BB0_489 Depth=2
	v_bfe_u32 v40, v118, 21, 1
	v_mov_b32_e32 v41, v55
	s_delay_alu instid0(VALU_DEP_1) | instskip(NEXT) | instid1(VALU_DEP_1)
	v_add_nc_u64_e32 v[40:41], v[118:119], v[40:41]
	v_add_nc_u64_e32 v[40:41], -1, v[40:41]
; %bb.570:                              ;   in Loop: Header=BB0_489 Depth=2
	s_or_b32 exec_lo, exec_lo, s22
	v_add_nc_u32_e32 v30, 0xffffff81, v30
	v_lshrrev_b32_e32 v119, 23, v118
	s_mov_b32 s7, exec_lo
	s_delay_alu instid0(VALU_DEP_2) | instskip(NEXT) | instid1(VALU_DEP_1)
	v_cndmask_b32_e64 v30, v30, 0xffffff82, vcc_lo
	v_add3_u32 v41, v43, v30, v119
	v_and_b32_e32 v30, 0x1fffff, v40
	s_delay_alu instid0(VALU_DEP_2) | instskip(NEXT) | instid1(VALU_DEP_2)
	v_dual_mov_b32 v119, v55 :: v_dual_add_nc_u32 v40, 14, v41
	v_add_nc_u32_e32 v118, v30, v118
                                        ; implicit-def: $vgpr30
	s_delay_alu instid0(VALU_DEP_2)
	v_cmpx_ne_u32_e32 0, v40
	s_xor_b32 s7, exec_lo, s7
; %bb.571:                              ;   in Loop: Header=BB0_489 Depth=2
	s_delay_alu instid0(VALU_DEP_2) | instskip(SKIP_1) | instid1(VALU_DEP_1)
	v_cmp_lt_u64_e32 vcc_lo, 0xffffff, v[118:119]
	v_add_nc_u32_e32 v30, 15, v41
	v_cndmask_b32_e32 v30, v40, v30, vcc_lo
	v_cndmask_b32_e64 v40, 0, 1, vcc_lo
	s_delay_alu instid0(VALU_DEP_1)
	v_lshrrev_b64 v[118:119], v40, v[118:119]
; %bb.572:                              ;   in Loop: Header=BB0_489 Depth=2
	s_and_not1_saveexec_b32 s7, s7
; %bb.573:                              ;   in Loop: Header=BB0_489 Depth=2
	s_delay_alu instid0(VALU_DEP_1)
	v_bfe_u32 v30, v118, 23, 1
; %bb.574:                              ;   in Loop: Header=BB0_489 Depth=2
	s_or_b32 exec_lo, exec_lo, s7
	s_delay_alu instid0(VALU_DEP_2) | instskip(NEXT) | instid1(VALU_DEP_2)
	v_lshrrev_b64 v[118:119], 21, v[118:119]
	v_cmp_gt_i32_e32 vcc_lo, 32, v30
	v_min_i32_e32 v40, 31, v30
	v_cmp_eq_u32_e64 s7, 0, v30
	s_delay_alu instid0(VALU_DEP_2) | instskip(SKIP_1) | instid1(VALU_DEP_2)
	v_dual_cndmask_b32 v119, 0, v119 :: v_dual_lshlrev_b32 v40, 2, v40
	v_cndmask_b32_e32 v118, 3, v118, vcc_lo
	v_and_b32_e32 v40, 0xfc, v40
	s_delay_alu instid0(VALU_DEP_2) | instskip(NEXT) | instid1(VALU_DEP_2)
	v_cmp_eq_u64_e32 vcc_lo, 0, v[118:119]
	v_and_or_b32 v30, v118, 3, v40
	s_and_b32 s7, s7, vcc_lo
	s_delay_alu instid0(VALU_DEP_1) | instid1(SALU_CYCLE_1)
	v_cndmask_b32_e64 v30, v30, 0, s7
	s_delay_alu instid0(VALU_DEP_1)
	v_or_b32_e32 v43, v30, v3
.LBB0_575:                              ;   in Loop: Header=BB0_489 Depth=2
	s_or_b32 exec_lo, exec_lo, s21
                                        ; implicit-def: $vgpr3
.LBB0_576:                              ;   in Loop: Header=BB0_489 Depth=2
	s_and_not1_saveexec_b32 s7, s20
; %bb.577:                              ;   in Loop: Header=BB0_489 Depth=2
	v_or_b32_e32 v43, 0x7b, v3
; %bb.578:                              ;   in Loop: Header=BB0_489 Depth=2
	s_or_b32 exec_lo, exec_lo, s7
                                        ; implicit-def: $vgpr30
                                        ; implicit-def: $vgpr118_vgpr119
                                        ; implicit-def: $vgpr3
.LBB0_579:                              ;   in Loop: Header=BB0_489 Depth=2
	s_and_not1_saveexec_b32 s7, s19
	s_cbranch_execz .LBB0_585
; %bb.580:                              ;   in Loop: Header=BB0_489 Depth=2
	s_mov_b32 s19, exec_lo
                                        ; implicit-def: $vgpr43
	v_cmpx_ne_u64_e32 0, v[118:119]
	s_xor_b32 s19, exec_lo, s19
; %bb.581:                              ;   in Loop: Header=BB0_489 Depth=2
	v_or_b32_e32 v43, 0x7f, v3
                                        ; implicit-def: $vgpr30
; %bb.582:                              ;   in Loop: Header=BB0_489 Depth=2
	s_and_not1_saveexec_b32 s19, s19
; %bb.583:                              ;   in Loop: Header=BB0_489 Depth=2
	v_cmp_lt_i32_e32 vcc_lo, -1, v30
	v_cndmask_b32_e32 v43, 0xfc, v58, vcc_lo
; %bb.584:                              ;   in Loop: Header=BB0_489 Depth=2
	s_or_b32 exec_lo, exec_lo, s19
.LBB0_585:                              ;   in Loop: Header=BB0_489 Depth=2
	s_delay_alu instid0(SALU_CYCLE_1) | instskip(SKIP_3) | instid1(VALU_DEP_2)
	s_or_b32 exec_lo, exec_lo, s7
	v_dual_lshrrev_b32 v30, 16, v2 :: v_dual_mov_b32 v118, 0
	v_mov_b32_e32 v3, 0
	s_mov_b32 s7, exec_lo
	v_and_b32_e32 v119, 0xff, v30
	s_delay_alu instid0(VALU_DEP_1)
	v_cmpx_ne_u16_e32 0, v119
	s_cbranch_execz .LBB0_595
; %bb.586:                              ;   in Loop: Header=BB0_489 Depth=2
	v_bfrev_b32_e32 v3, 1
	s_mov_b32 s19, exec_lo
	v_cmpx_ne_u16_e32 0x80, v119
	s_cbranch_execz .LBB0_594
; %bb.587:                              ;   in Loop: Header=BB0_489 Depth=2
	v_and_b32_e32 v3, 0x7c0000, v2
	v_bfe_u32 v119, v2, 16, 2
	s_delay_alu instid0(VALU_DEP_2) | instskip(SKIP_1) | instid1(SALU_CYCLE_1)
	v_cmp_ne_u32_e32 vcc_lo, 0x7c0000, v3
                                        ; implicit-def: $vgpr3
	s_and_saveexec_b32 s20, vcc_lo
	s_xor_b32 s20, exec_lo, s20
	s_cbranch_execz .LBB0_591
; %bb.588:                              ;   in Loop: Header=BB0_489 Depth=2
	v_bfe_u32 v3, v2, 18, 5
	s_mov_b32 s21, exec_lo
	s_delay_alu instid0(VALU_DEP_1)
	v_cmpx_eq_u32_e32 0, v3
; %bb.589:                              ;   in Loop: Header=BB0_489 Depth=2
	v_clz_i32_u32_e32 v3, v119
	s_delay_alu instid0(VALU_DEP_1) | instskip(NEXT) | instid1(VALU_DEP_1)
	v_min_u32_e32 v3, 32, v3
	v_subrev_nc_u32_e32 v119, 29, v3
	s_delay_alu instid0(VALU_DEP_1) | instskip(NEXT) | instid1(VALU_DEP_1)
	v_lshlrev_b64_e32 v[40:41], v119, v[30:31]
	v_dual_sub_nc_u32 v3, 30, v3 :: v_dual_bitop2_b32 v119, 3, v40 bitop3:0x40
; %bb.590:                              ;   in Loop: Header=BB0_489 Depth=2
	s_or_b32 exec_lo, exec_lo, s21
	v_lshlrev_b32_e32 v30, 24, v30
	s_delay_alu instid0(VALU_DEP_1) | instskip(NEXT) | instid1(VALU_DEP_1)
	v_and_b32_e32 v30, 0x80000000, v30
	v_lshl_add_u32 v3, v3, 23, v30
                                        ; implicit-def: $vgpr30
	s_delay_alu instid0(VALU_DEP_1) | instskip(NEXT) | instid1(VALU_DEP_1)
	v_lshl_or_b32 v3, v119, 21, v3
                                        ; implicit-def: $vgpr119
	v_add_nc_u32_e32 v3, 0x38000000, v3
.LBB0_591:                              ;   in Loop: Header=BB0_489 Depth=2
	s_and_not1_saveexec_b32 s20, s20
; %bb.592:                              ;   in Loop: Header=BB0_489 Depth=2
	v_bfe_i32 v3, v30, 0, 8
	s_delay_alu instid0(VALU_DEP_1) | instskip(SKIP_2) | instid1(VALU_DEP_2)
	v_cmp_lt_i16_e32 vcc_lo, -1, v3
	v_cndmask_b32_e32 v3, 0xff800000, v21, vcc_lo
	v_cmp_eq_u32_e32 vcc_lo, 0, v119
	v_cndmask_b32_e32 v3, 0x7f800001, v3, vcc_lo
; %bb.593:                              ;   in Loop: Header=BB0_489 Depth=2
	s_or_b32 exec_lo, exec_lo, s20
.LBB0_594:                              ;   in Loop: Header=BB0_489 Depth=2
	s_delay_alu instid0(SALU_CYCLE_1)
	s_or_b32 exec_lo, exec_lo, s19
.LBB0_595:                              ;   in Loop: Header=BB0_489 Depth=2
	s_delay_alu instid0(SALU_CYCLE_1) | instskip(SKIP_2) | instid1(VALU_DEP_1)
	s_or_b32 exec_lo, exec_lo, s7
	v_lshrrev_b32_e32 v30, 16, v54
	s_mov_b32 s7, exec_lo
	v_and_b32_e32 v119, 0xff, v30
	s_delay_alu instid0(VALU_DEP_1)
	v_cmpx_ne_u16_e32 0, v119
	s_cbranch_execz .LBB0_605
; %bb.596:                              ;   in Loop: Header=BB0_489 Depth=2
	v_bfrev_b32_e32 v118, 1
	s_mov_b32 s19, exec_lo
	v_cmpx_ne_u16_e32 0x80, v119
	s_cbranch_execz .LBB0_604
; %bb.597:                              ;   in Loop: Header=BB0_489 Depth=2
	v_and_b32_e32 v118, 0x7c0000, v54
	v_bfe_u32 v119, v54, 16, 2
	s_delay_alu instid0(VALU_DEP_2) | instskip(SKIP_1) | instid1(SALU_CYCLE_1)
	v_cmp_ne_u32_e32 vcc_lo, 0x7c0000, v118
                                        ; implicit-def: $vgpr118
	s_and_saveexec_b32 s20, vcc_lo
	s_xor_b32 s20, exec_lo, s20
	s_cbranch_execz .LBB0_601
; %bb.598:                              ;   in Loop: Header=BB0_489 Depth=2
	v_bfe_u32 v118, v54, 18, 5
	v_lshrrev_b32_e32 v30, 16, v54
	s_mov_b32 s21, exec_lo
	s_delay_alu instid0(VALU_DEP_2)
	v_cmpx_eq_u32_e32 0, v118
; %bb.599:                              ;   in Loop: Header=BB0_489 Depth=2
	v_clz_i32_u32_e32 v118, v119
	s_delay_alu instid0(VALU_DEP_1) | instskip(NEXT) | instid1(VALU_DEP_1)
	v_min_u32_e32 v118, 32, v118
	v_subrev_nc_u32_e32 v119, 29, v118
	s_delay_alu instid0(VALU_DEP_1) | instskip(NEXT) | instid1(VALU_DEP_1)
	v_lshlrev_b64_e32 v[40:41], v119, v[30:31]
	v_dual_sub_nc_u32 v118, 30, v118 :: v_dual_bitop2_b32 v119, 3, v40 bitop3:0x40
; %bb.600:                              ;   in Loop: Header=BB0_489 Depth=2
	s_or_b32 exec_lo, exec_lo, s21
	v_lshlrev_b32_e32 v30, 24, v30
	s_delay_alu instid0(VALU_DEP_1) | instskip(NEXT) | instid1(VALU_DEP_1)
	v_and_b32_e32 v30, 0x80000000, v30
	v_lshl_add_u32 v30, v118, 23, v30
	s_delay_alu instid0(VALU_DEP_1) | instskip(NEXT) | instid1(VALU_DEP_1)
	v_lshl_or_b32 v30, v119, 21, v30
                                        ; implicit-def: $vgpr119
	v_add_nc_u32_e32 v118, 0x38000000, v30
                                        ; implicit-def: $vgpr30
.LBB0_601:                              ;   in Loop: Header=BB0_489 Depth=2
	s_and_not1_saveexec_b32 s20, s20
; %bb.602:                              ;   in Loop: Header=BB0_489 Depth=2
	v_bfe_i32 v30, v30, 0, 8
	s_delay_alu instid0(VALU_DEP_1) | instskip(SKIP_2) | instid1(VALU_DEP_2)
	v_cmp_lt_i16_e32 vcc_lo, -1, v30
	v_cndmask_b32_e32 v30, 0xff800000, v21, vcc_lo
	v_cmp_eq_u32_e32 vcc_lo, 0, v119
	v_cndmask_b32_e32 v118, 0x7f800001, v30, vcc_lo
; %bb.603:                              ;   in Loop: Header=BB0_489 Depth=2
	s_or_b32 exec_lo, exec_lo, s20
.LBB0_604:                              ;   in Loop: Header=BB0_489 Depth=2
	s_delay_alu instid0(SALU_CYCLE_1)
	s_or_b32 exec_lo, exec_lo, s19
.LBB0_605:                              ;   in Loop: Header=BB0_489 Depth=2
	s_delay_alu instid0(SALU_CYCLE_1) | instskip(NEXT) | instid1(VALU_DEP_1)
	s_or_b32 exec_lo, exec_lo, s7
	v_mul_f32_e32 v30, v3, v118
	v_dual_mov_b32 v41, v55 :: v_dual_mov_b32 v119, v55
	s_delay_alu instid0(VALU_DEP_2) | instskip(SKIP_2) | instid1(VALU_DEP_3)
	v_and_b32_e32 v40, 0x7f800000, v30
	v_and_b32_e32 v118, 0x7fffff, v30
	v_lshrrev_b32_e32 v3, 24, v30
	v_cmp_ne_u64_e32 vcc_lo, 0x7f800000, v[40:41]
                                        ; implicit-def: $vgpr40
	s_and_saveexec_b32 s7, vcc_lo
	s_delay_alu instid0(SALU_CYCLE_1)
	s_xor_b32 s19, exec_lo, s7
	s_cbranch_execz .LBB0_619
; %bb.606:                              ;   in Loop: Header=BB0_489 Depth=2
	v_and_b32_e32 v40, 0x7fffffff, v30
	v_mov_b32_e32 v41, v55
	v_and_b32_e32 v3, 0x80, v3
	s_delay_alu instid0(VALU_DEP_2) | instskip(SKIP_1) | instid1(SALU_CYCLE_1)
	v_cmp_gt_u64_e32 vcc_lo, 0x47600001, v[40:41]
                                        ; implicit-def: $vgpr40
	s_and_saveexec_b32 s7, vcc_lo
	s_xor_b32 s20, exec_lo, s7
	s_cbranch_execz .LBB0_616
; %bb.607:                              ;   in Loop: Header=BB0_489 Depth=2
	v_mov_b32_e32 v40, 0
	s_mov_b32 s21, exec_lo
	v_cmpx_ne_u32_e32 0, v30
	s_cbranch_execz .LBB0_615
; %bb.608:                              ;   in Loop: Header=BB0_489 Depth=2
	v_bfe_u32 v30, v30, 23, 8
	v_or_b32_e32 v41, 0x800000, v118
	s_delay_alu instid0(VALU_DEP_2) | instskip(SKIP_2) | instid1(VALU_DEP_2)
	v_cmp_gt_u32_e64 s7, 0x72, v30
	v_sub_nc_u32_e32 v40, 0x71, v30
	v_cmp_eq_u32_e32 vcc_lo, 0, v30
	v_dual_cndmask_b32 v40, 0, v40, s7 :: v_dual_cndmask_b32 v118, v41, v118, vcc_lo
	s_delay_alu instid0(VALU_DEP_1) | instskip(NEXT) | instid1(VALU_DEP_1)
	v_cndmask_b32_e64 v47, v40, 0x70, vcc_lo
	v_dual_add_nc_u32 v40, 21, v47 :: v_dual_add_nc_u32 v61, 20, v47
	s_delay_alu instid0(VALU_DEP_1) | instskip(NEXT) | instid1(VALU_DEP_2)
	v_lshlrev_b64_e64 v[40:41], v40, -1
	v_lshlrev_b64_e64 v[62:63], v61, 1
	s_delay_alu instid0(VALU_DEP_2) | instskip(SKIP_1) | instid1(VALU_DEP_4)
	v_bfi_b32 v40, v40, 0, v118
	v_lshrrev_b64 v[118:119], v47, v[118:119]
	v_bfi_b32 v41, v41, 0, 0
	s_delay_alu instid0(VALU_DEP_1) | instskip(NEXT) | instid1(VALU_DEP_3)
	v_cmp_eq_u64_e64 s7, v[40:41], v[62:63]
	v_mov_b64_e32 v[40:41], v[118:119]
	s_and_saveexec_b32 s22, s7
; %bb.609:                              ;   in Loop: Header=BB0_489 Depth=2
	v_bfe_u32 v40, v118, 21, 1
	v_mov_b32_e32 v41, v55
	s_delay_alu instid0(VALU_DEP_1) | instskip(NEXT) | instid1(VALU_DEP_1)
	v_add_nc_u64_e32 v[40:41], v[118:119], v[40:41]
	v_add_nc_u64_e32 v[40:41], -1, v[40:41]
; %bb.610:                              ;   in Loop: Header=BB0_489 Depth=2
	s_or_b32 exec_lo, exec_lo, s22
	v_add_nc_u32_e32 v30, 0xffffff81, v30
	v_lshrrev_b32_e32 v119, 23, v118
	s_mov_b32 s7, exec_lo
	s_delay_alu instid0(VALU_DEP_2) | instskip(NEXT) | instid1(VALU_DEP_1)
	v_cndmask_b32_e64 v30, v30, 0xffffff82, vcc_lo
	v_add3_u32 v41, v47, v30, v119
	v_and_b32_e32 v30, 0x1fffff, v40
	s_delay_alu instid0(VALU_DEP_2) | instskip(NEXT) | instid1(VALU_DEP_2)
	v_dual_mov_b32 v119, v55 :: v_dual_add_nc_u32 v40, 14, v41
	v_add_nc_u32_e32 v118, v30, v118
                                        ; implicit-def: $vgpr30
	s_delay_alu instid0(VALU_DEP_2)
	v_cmpx_ne_u32_e32 0, v40
	s_xor_b32 s7, exec_lo, s7
; %bb.611:                              ;   in Loop: Header=BB0_489 Depth=2
	s_delay_alu instid0(VALU_DEP_2) | instskip(SKIP_1) | instid1(VALU_DEP_1)
	v_cmp_lt_u64_e32 vcc_lo, 0xffffff, v[118:119]
	v_add_nc_u32_e32 v30, 15, v41
	v_cndmask_b32_e32 v30, v40, v30, vcc_lo
	v_cndmask_b32_e64 v40, 0, 1, vcc_lo
	s_delay_alu instid0(VALU_DEP_1)
	v_lshrrev_b64 v[118:119], v40, v[118:119]
; %bb.612:                              ;   in Loop: Header=BB0_489 Depth=2
	s_and_not1_saveexec_b32 s7, s7
; %bb.613:                              ;   in Loop: Header=BB0_489 Depth=2
	s_delay_alu instid0(VALU_DEP_1)
	v_bfe_u32 v30, v118, 23, 1
; %bb.614:                              ;   in Loop: Header=BB0_489 Depth=2
	s_or_b32 exec_lo, exec_lo, s7
	s_delay_alu instid0(VALU_DEP_2) | instskip(NEXT) | instid1(VALU_DEP_2)
	v_lshrrev_b64 v[118:119], 21, v[118:119]
	v_cmp_gt_i32_e32 vcc_lo, 32, v30
	v_min_i32_e32 v40, 31, v30
	v_cmp_eq_u32_e64 s7, 0, v30
	s_delay_alu instid0(VALU_DEP_2) | instskip(SKIP_1) | instid1(VALU_DEP_2)
	v_dual_cndmask_b32 v119, 0, v119 :: v_dual_lshlrev_b32 v40, 2, v40
	v_cndmask_b32_e32 v118, 3, v118, vcc_lo
	v_and_b32_e32 v40, 0xfc, v40
	s_delay_alu instid0(VALU_DEP_2) | instskip(NEXT) | instid1(VALU_DEP_2)
	v_cmp_eq_u64_e32 vcc_lo, 0, v[118:119]
	v_and_or_b32 v30, v118, 3, v40
	s_and_b32 s7, s7, vcc_lo
	s_delay_alu instid0(VALU_DEP_1) | instid1(SALU_CYCLE_1)
	v_cndmask_b32_e64 v30, v30, 0, s7
	s_delay_alu instid0(VALU_DEP_1)
	v_or_b32_e32 v40, v30, v3
.LBB0_615:                              ;   in Loop: Header=BB0_489 Depth=2
	s_or_b32 exec_lo, exec_lo, s21
                                        ; implicit-def: $vgpr3
.LBB0_616:                              ;   in Loop: Header=BB0_489 Depth=2
	s_and_not1_saveexec_b32 s7, s20
; %bb.617:                              ;   in Loop: Header=BB0_489 Depth=2
	v_or_b32_e32 v40, 0x7b, v3
; %bb.618:                              ;   in Loop: Header=BB0_489 Depth=2
	s_or_b32 exec_lo, exec_lo, s7
                                        ; implicit-def: $vgpr30
                                        ; implicit-def: $vgpr118_vgpr119
                                        ; implicit-def: $vgpr3
.LBB0_619:                              ;   in Loop: Header=BB0_489 Depth=2
	s_and_not1_saveexec_b32 s7, s19
	s_cbranch_execz .LBB0_625
; %bb.620:                              ;   in Loop: Header=BB0_489 Depth=2
	s_mov_b32 s19, exec_lo
                                        ; implicit-def: $vgpr40
	v_cmpx_ne_u64_e32 0, v[118:119]
	s_xor_b32 s19, exec_lo, s19
; %bb.621:                              ;   in Loop: Header=BB0_489 Depth=2
	v_or_b32_e32 v40, 0x7f, v3
                                        ; implicit-def: $vgpr30
; %bb.622:                              ;   in Loop: Header=BB0_489 Depth=2
	s_and_not1_saveexec_b32 s19, s19
; %bb.623:                              ;   in Loop: Header=BB0_489 Depth=2
	v_cmp_lt_i32_e32 vcc_lo, -1, v30
	v_cndmask_b32_e32 v40, 0xfc, v58, vcc_lo
; %bb.624:                              ;   in Loop: Header=BB0_489 Depth=2
	s_or_b32 exec_lo, exec_lo, s19
.LBB0_625:                              ;   in Loop: Header=BB0_489 Depth=2
	s_delay_alu instid0(SALU_CYCLE_1)
	s_or_b32 exec_lo, exec_lo, s7
	v_dual_mov_b32 v3, 0 :: v_dual_mov_b32 v118, 0
	s_mov_b32 s7, exec_lo
	v_cmpx_lt_u32_e32 0xffffff, v2
	s_cbranch_execz .LBB0_635
; %bb.626:                              ;   in Loop: Header=BB0_489 Depth=2
	v_lshrrev_b32_e32 v30, 24, v2
	v_bfrev_b32_e32 v118, 1
	s_mov_b32 s19, exec_lo
	s_delay_alu instid0(VALU_DEP_2)
	v_cmpx_ne_u32_e32 0x80, v30
	s_cbranch_execz .LBB0_634
; %bb.627:                              ;   in Loop: Header=BB0_489 Depth=2
	v_and_b32_e32 v118, 0x7c000000, v2
	v_bfe_u32 v119, v2, 24, 2
	s_delay_alu instid0(VALU_DEP_2) | instskip(SKIP_1) | instid1(SALU_CYCLE_1)
	v_cmp_ne_u32_e32 vcc_lo, 0x7c000000, v118
                                        ; implicit-def: $vgpr118
	s_and_saveexec_b32 s20, vcc_lo
	s_xor_b32 s20, exec_lo, s20
	s_cbranch_execz .LBB0_631
; %bb.628:                              ;   in Loop: Header=BB0_489 Depth=2
	v_bfe_u32 v118, v2, 26, 5
	s_mov_b32 s21, exec_lo
	s_delay_alu instid0(VALU_DEP_1)
	v_cmpx_eq_u32_e32 0, v118
; %bb.629:                              ;   in Loop: Header=BB0_489 Depth=2
	v_clz_i32_u32_e32 v118, v119
	s_delay_alu instid0(VALU_DEP_1) | instskip(NEXT) | instid1(VALU_DEP_1)
	v_min_u32_e32 v118, 32, v118
	v_subrev_nc_u32_e32 v119, 29, v118
	v_sub_nc_u32_e32 v118, 30, v118
	s_delay_alu instid0(VALU_DEP_2) | instskip(NEXT) | instid1(VALU_DEP_1)
	v_lshlrev_b64_e32 v[62:63], v119, v[30:31]
	v_and_b32_e32 v119, 3, v62
; %bb.630:                              ;   in Loop: Header=BB0_489 Depth=2
	s_or_b32 exec_lo, exec_lo, s21
	v_and_b32_e32 v2, 0x80000000, v2
	s_delay_alu instid0(VALU_DEP_1) | instskip(NEXT) | instid1(VALU_DEP_1)
	v_lshl_add_u32 v2, v118, 23, v2
	v_lshl_or_b32 v2, v119, 21, v2
                                        ; implicit-def: $vgpr119
	s_delay_alu instid0(VALU_DEP_1)
	v_add_nc_u32_e32 v118, 0x38000000, v2
.LBB0_631:                              ;   in Loop: Header=BB0_489 Depth=2
	s_and_not1_saveexec_b32 s20, s20
; %bb.632:                              ;   in Loop: Header=BB0_489 Depth=2
	v_cmp_lt_i32_e32 vcc_lo, -1, v2
	v_cndmask_b32_e32 v2, 0xff800000, v21, vcc_lo
	v_cmp_eq_u32_e32 vcc_lo, 0, v119
	s_delay_alu instid0(VALU_DEP_2)
	v_cndmask_b32_e32 v118, 0x7f800001, v2, vcc_lo
; %bb.633:                              ;   in Loop: Header=BB0_489 Depth=2
	s_or_b32 exec_lo, exec_lo, s20
.LBB0_634:                              ;   in Loop: Header=BB0_489 Depth=2
	s_delay_alu instid0(SALU_CYCLE_1)
	s_or_b32 exec_lo, exec_lo, s19
.LBB0_635:                              ;   in Loop: Header=BB0_489 Depth=2
	s_delay_alu instid0(SALU_CYCLE_1) | instskip(NEXT) | instid1(SALU_CYCLE_1)
	s_or_b32 exec_lo, exec_lo, s7
	s_mov_b32 s7, exec_lo
	v_cmpx_lt_u32_e32 0xffffff, v54
	s_cbranch_execz .LBB0_645
; %bb.636:                              ;   in Loop: Header=BB0_489 Depth=2
	v_lshrrev_b32_e32 v2, 24, v54
	v_bfrev_b32_e32 v3, 1
	s_mov_b32 s19, exec_lo
	s_delay_alu instid0(VALU_DEP_2)
	v_cmpx_ne_u32_e32 0x80, v2
	s_cbranch_execz .LBB0_644
; %bb.637:                              ;   in Loop: Header=BB0_489 Depth=2
	v_and_b32_e32 v3, 0x7c000000, v54
	v_bfe_u32 v30, v54, 24, 2
	s_delay_alu instid0(VALU_DEP_2) | instskip(SKIP_1) | instid1(SALU_CYCLE_1)
	v_cmp_ne_u32_e32 vcc_lo, 0x7c000000, v3
                                        ; implicit-def: $vgpr3
	s_and_saveexec_b32 s20, vcc_lo
	s_xor_b32 s20, exec_lo, s20
	s_cbranch_execz .LBB0_641
; %bb.638:                              ;   in Loop: Header=BB0_489 Depth=2
	v_bfe_u32 v3, v54, 26, 5
	s_mov_b32 s21, exec_lo
	s_delay_alu instid0(VALU_DEP_1)
	v_cmpx_eq_u32_e32 0, v3
; %bb.639:                              ;   in Loop: Header=BB0_489 Depth=2
	v_clz_i32_u32_e32 v3, v30
	s_delay_alu instid0(VALU_DEP_1) | instskip(NEXT) | instid1(VALU_DEP_1)
	v_min_u32_e32 v30, 32, v3
	v_subrev_nc_u32_e32 v3, 29, v30
	s_delay_alu instid0(VALU_DEP_1) | instskip(SKIP_1) | instid1(VALU_DEP_2)
	v_lshlrev_b64_e32 v[2:3], v3, v[2:3]
	v_sub_nc_u32_e32 v3, 30, v30
	v_and_b32_e32 v30, 3, v2
; %bb.640:                              ;   in Loop: Header=BB0_489 Depth=2
	s_or_b32 exec_lo, exec_lo, s21
	v_and_b32_e32 v2, 0x80000000, v54
	s_delay_alu instid0(VALU_DEP_1) | instskip(NEXT) | instid1(VALU_DEP_1)
	v_lshl_add_u32 v2, v3, 23, v2
	v_lshl_or_b32 v2, v30, 21, v2
                                        ; implicit-def: $vgpr30
	s_delay_alu instid0(VALU_DEP_1)
	v_add_nc_u32_e32 v3, 0x38000000, v2
.LBB0_641:                              ;   in Loop: Header=BB0_489 Depth=2
	s_and_not1_saveexec_b32 s20, s20
; %bb.642:                              ;   in Loop: Header=BB0_489 Depth=2
	v_cmp_lt_i32_e32 vcc_lo, -1, v54
	v_cndmask_b32_e32 v2, 0xff800000, v21, vcc_lo
	v_cmp_eq_u32_e32 vcc_lo, 0, v30
	s_delay_alu instid0(VALU_DEP_2)
	v_cndmask_b32_e32 v3, 0x7f800001, v2, vcc_lo
; %bb.643:                              ;   in Loop: Header=BB0_489 Depth=2
	s_or_b32 exec_lo, exec_lo, s20
.LBB0_644:                              ;   in Loop: Header=BB0_489 Depth=2
	s_delay_alu instid0(SALU_CYCLE_1)
	s_or_b32 exec_lo, exec_lo, s19
.LBB0_645:                              ;   in Loop: Header=BB0_489 Depth=2
	s_delay_alu instid0(SALU_CYCLE_1) | instskip(NEXT) | instid1(VALU_DEP_1)
	s_or_b32 exec_lo, exec_lo, s7
	v_dual_mul_f32 v2, v118, v3 :: v_dual_mov_b32 v119, v55
                                        ; implicit-def: $vgpr41
	s_mov_b32 s7, exec_lo
	s_delay_alu instid0(VALU_DEP_1) | instskip(SKIP_2) | instid1(VALU_DEP_3)
	v_and_b32_e32 v118, 0x7f800000, v2
	v_and_b32_e32 v54, 0x7fffff, v2
	v_lshrrev_b32_e32 v3, 24, v2
	v_cmpx_ne_u64_e32 0x7f800000, v[118:119]
	s_xor_b32 s19, exec_lo, s7
	s_cbranch_execz .LBB0_659
; %bb.646:                              ;   in Loop: Header=BB0_489 Depth=2
	v_and_b32_e32 v118, 0x7fffffff, v2
	v_mov_b32_e32 v119, v55
	v_and_b32_e32 v30, 0x80, v3
                                        ; implicit-def: $vgpr41
	s_mov_b32 s7, exec_lo
	s_delay_alu instid0(VALU_DEP_2)
	v_cmpx_gt_u64_e32 0x47600001, v[118:119]
	s_xor_b32 s20, exec_lo, s7
	s_cbranch_execz .LBB0_656
; %bb.647:                              ;   in Loop: Header=BB0_489 Depth=2
	v_mov_b32_e32 v41, 0
	s_mov_b32 s21, exec_lo
	v_cmpx_ne_u32_e32 0, v2
	s_cbranch_execz .LBB0_655
; %bb.648:                              ;   in Loop: Header=BB0_489 Depth=2
	v_bfe_u32 v41, v2, 23, 8
	v_or_b32_e32 v118, 0x800000, v54
	s_delay_alu instid0(VALU_DEP_2) | instskip(SKIP_1) | instid1(VALU_DEP_2)
	v_sub_nc_u32_e32 v2, 0x71, v41
	v_cmp_gt_u32_e32 vcc_lo, 0x72, v41
	v_cndmask_b32_e32 v2, 0, v2, vcc_lo
	v_cmp_eq_u32_e32 vcc_lo, 0, v41
	s_delay_alu instid0(VALU_DEP_2) | instskip(NEXT) | instid1(VALU_DEP_1)
	v_cndmask_b32_e64 v47, v2, 0x70, vcc_lo
	v_dual_cndmask_b32 v54, v118, v54, vcc_lo :: v_dual_add_nc_u32 v2, 21, v47
	v_add_nc_u32_e32 v119, 20, v47
	s_delay_alu instid0(VALU_DEP_2) | instskip(NEXT) | instid1(VALU_DEP_2)
	v_lshlrev_b64_e64 v[2:3], v2, -1
	v_lshlrev_b64_e64 v[118:119], v119, 1
	s_delay_alu instid0(VALU_DEP_2) | instskip(NEXT) | instid1(VALU_DEP_3)
	v_bfi_b32 v63, v3, 0, 0
	v_bfi_b32 v62, v2, 0, v54
	v_lshrrev_b64 v[2:3], v47, v[54:55]
	s_delay_alu instid0(VALU_DEP_2) | instskip(NEXT) | instid1(VALU_DEP_2)
	v_cmp_eq_u64_e64 s7, v[62:63], v[118:119]
	v_mov_b64_e32 v[118:119], v[2:3]
	s_and_saveexec_b32 s22, s7
; %bb.649:                              ;   in Loop: Header=BB0_489 Depth=2
	v_bfe_u32 v54, v2, 21, 1
	s_delay_alu instid0(VALU_DEP_1) | instskip(NEXT) | instid1(VALU_DEP_1)
	v_add_nc_u64_e32 v[118:119], v[2:3], v[54:55]
	v_add_nc_u64_e32 v[118:119], -1, v[118:119]
; %bb.650:                              ;   in Loop: Header=BB0_489 Depth=2
	s_or_b32 exec_lo, exec_lo, s22
	v_add_nc_u32_e32 v3, 0xffffff81, v41
	v_lshrrev_b32_e32 v54, 23, v2
	s_mov_b32 s7, exec_lo
	s_delay_alu instid0(VALU_DEP_2) | instskip(NEXT) | instid1(VALU_DEP_1)
	v_cndmask_b32_e64 v3, v3, 0xffffff82, vcc_lo
	v_add3_u32 v119, v47, v3, v54
	v_and_b32_e32 v3, 0x1fffff, v118
                                        ; implicit-def: $vgpr118
	s_delay_alu instid0(VALU_DEP_1) | instskip(NEXT) | instid1(VALU_DEP_1)
	v_dual_add_nc_u32 v41, 14, v119 :: v_dual_add_nc_u32 v54, v3, v2
                                        ; implicit-def: $vgpr2_vgpr3
	v_cmpx_ne_u32_e32 0, v41
	s_xor_b32 s7, exec_lo, s7
; %bb.651:                              ;   in Loop: Header=BB0_489 Depth=2
	s_delay_alu instid0(VALU_DEP_2) | instskip(SKIP_1) | instid1(VALU_DEP_1)
	v_cmp_lt_u64_e32 vcc_lo, 0xffffff, v[54:55]
	v_add_nc_u32_e32 v2, 15, v119
	v_cndmask_b32_e32 v118, v41, v2, vcc_lo
	v_cndmask_b32_e64 v2, 0, 1, vcc_lo
	s_delay_alu instid0(VALU_DEP_1)
	v_lshrrev_b64 v[2:3], v2, v[54:55]
; %bb.652:                              ;   in Loop: Header=BB0_489 Depth=2
	s_and_not1_saveexec_b32 s7, s7
; %bb.653:                              ;   in Loop: Header=BB0_489 Depth=2
	v_mov_b64_e32 v[2:3], v[54:55]
	v_bfe_u32 v118, v54, 23, 1
; %bb.654:                              ;   in Loop: Header=BB0_489 Depth=2
	s_or_b32 exec_lo, exec_lo, s7
	s_delay_alu instid0(VALU_DEP_2) | instskip(NEXT) | instid1(VALU_DEP_2)
	v_lshrrev_b64 v[2:3], 21, v[2:3]
	v_cmp_gt_i32_e32 vcc_lo, 32, v118
	v_min_i32_e32 v54, 31, v118
	v_cmp_eq_u32_e64 s7, 0, v118
	s_delay_alu instid0(VALU_DEP_2) | instskip(SKIP_1) | instid1(VALU_DEP_2)
	v_dual_cndmask_b32 v3, 0, v3 :: v_dual_lshlrev_b32 v54, 2, v54
	v_cndmask_b32_e32 v2, 3, v2, vcc_lo
	v_and_b32_e32 v54, 0xfc, v54
	s_delay_alu instid0(VALU_DEP_2) | instskip(NEXT) | instid1(VALU_DEP_2)
	v_cmp_eq_u64_e32 vcc_lo, 0, v[2:3]
	v_and_or_b32 v2, v2, 3, v54
	s_and_b32 s7, s7, vcc_lo
	s_delay_alu instid0(VALU_DEP_1) | instid1(SALU_CYCLE_1)
	v_cndmask_b32_e64 v2, v2, 0, s7
	s_delay_alu instid0(VALU_DEP_1)
	v_or_b32_e32 v41, v2, v30
.LBB0_655:                              ;   in Loop: Header=BB0_489 Depth=2
	s_or_b32 exec_lo, exec_lo, s21
                                        ; implicit-def: $vgpr30
.LBB0_656:                              ;   in Loop: Header=BB0_489 Depth=2
	s_and_not1_saveexec_b32 s7, s20
; %bb.657:                              ;   in Loop: Header=BB0_489 Depth=2
	v_or_b32_e32 v41, 0x7b, v30
; %bb.658:                              ;   in Loop: Header=BB0_489 Depth=2
	s_or_b32 exec_lo, exec_lo, s7
                                        ; implicit-def: $vgpr2
                                        ; implicit-def: $vgpr3
.LBB0_659:                              ;   in Loop: Header=BB0_489 Depth=2
	s_and_not1_saveexec_b32 s7, s19
	s_cbranch_execz .LBB0_665
; %bb.660:                              ;   in Loop: Header=BB0_489 Depth=2
	s_mov_b32 s19, exec_lo
                                        ; implicit-def: $vgpr41
	v_cmpx_ne_u64_e32 0, v[54:55]
	s_xor_b32 s19, exec_lo, s19
; %bb.661:                              ;   in Loop: Header=BB0_489 Depth=2
	v_or_b32_e32 v41, 0x7f, v3
                                        ; implicit-def: $vgpr2
; %bb.662:                              ;   in Loop: Header=BB0_489 Depth=2
	s_and_not1_saveexec_b32 s19, s19
; %bb.663:                              ;   in Loop: Header=BB0_489 Depth=2
	v_cmp_lt_i32_e32 vcc_lo, -1, v2
	v_cndmask_b32_e32 v41, 0xfc, v58, vcc_lo
; %bb.664:                              ;   in Loop: Header=BB0_489 Depth=2
	s_or_b32 exec_lo, exec_lo, s19
.LBB0_665:                              ;   in Loop: Header=BB0_489 Depth=2
	s_delay_alu instid0(SALU_CYCLE_1) | instskip(SKIP_2) | instid1(VALU_DEP_2)
	s_or_b32 exec_lo, exec_lo, s7
	v_and_b32_e32 v3, 0xff, v4
	v_mov_b32_e32 v2, 0
	v_cmp_ne_u16_e32 vcc_lo, 0, v3
	v_mov_b32_e32 v3, 0
	s_and_saveexec_b32 s7, vcc_lo
	s_cbranch_execz .LBB0_675
; %bb.666:                              ;   in Loop: Header=BB0_489 Depth=2
	v_bfe_i32 v54, v4, 0, 8
	v_bfrev_b32_e32 v3, 1
	s_mov_b32 s19, exec_lo
	s_delay_alu instid0(VALU_DEP_2)
	v_cmpx_ne_u16_e32 0xff80, v54
	s_cbranch_execz .LBB0_674
; %bb.667:                              ;   in Loop: Header=BB0_489 Depth=2
	v_and_b32_e32 v3, 0x7c, v4
	v_and_b32_e32 v30, 3, v4
	s_delay_alu instid0(VALU_DEP_2) | instskip(SKIP_1) | instid1(SALU_CYCLE_1)
	v_cmp_ne_u32_e32 vcc_lo, 0x7c, v3
                                        ; implicit-def: $vgpr3
	s_and_saveexec_b32 s20, vcc_lo
	s_xor_b32 s20, exec_lo, s20
	s_cbranch_execz .LBB0_671
; %bb.668:                              ;   in Loop: Header=BB0_489 Depth=2
	v_bfe_u32 v3, v4, 2, 5
	s_mov_b32 s21, exec_lo
	s_delay_alu instid0(VALU_DEP_1)
	v_cmpx_eq_u32_e32 0, v3
; %bb.669:                              ;   in Loop: Header=BB0_489 Depth=2
	v_clz_i32_u32_e32 v3, v30
	s_delay_alu instid0(VALU_DEP_1) | instskip(NEXT) | instid1(VALU_DEP_1)
	v_min_u32_e32 v3, 32, v3
	v_subrev_nc_u32_e32 v30, 29, v3
	s_delay_alu instid0(VALU_DEP_1) | instskip(NEXT) | instid1(VALU_DEP_1)
	v_lshlrev_b64_e32 v[118:119], v30, v[4:5]
	v_dual_sub_nc_u32 v3, 30, v3 :: v_dual_bitop2_b32 v30, 3, v118 bitop3:0x40
; %bb.670:                              ;   in Loop: Header=BB0_489 Depth=2
	s_or_b32 exec_lo, exec_lo, s21
	v_lshlrev_b32_e32 v5, 24, v4
                                        ; implicit-def: $vgpr54
	s_delay_alu instid0(VALU_DEP_1) | instskip(NEXT) | instid1(VALU_DEP_1)
	v_and_b32_e32 v5, 0x80000000, v5
	v_lshl_add_u32 v3, v3, 23, v5
	s_delay_alu instid0(VALU_DEP_1) | instskip(NEXT) | instid1(VALU_DEP_1)
	v_lshl_or_b32 v3, v30, 21, v3
                                        ; implicit-def: $vgpr30
	v_add_nc_u32_e32 v3, 0x38000000, v3
.LBB0_671:                              ;   in Loop: Header=BB0_489 Depth=2
	s_and_not1_saveexec_b32 s20, s20
; %bb.672:                              ;   in Loop: Header=BB0_489 Depth=2
	v_cmp_lt_i16_e32 vcc_lo, -1, v54
	v_cndmask_b32_e32 v3, 0xff800000, v21, vcc_lo
	v_cmp_eq_u32_e32 vcc_lo, 0, v30
	s_delay_alu instid0(VALU_DEP_2)
	v_cndmask_b32_e32 v3, 0x7f800001, v3, vcc_lo
; %bb.673:                              ;   in Loop: Header=BB0_489 Depth=2
	s_or_b32 exec_lo, exec_lo, s20
.LBB0_674:                              ;   in Loop: Header=BB0_489 Depth=2
	s_delay_alu instid0(SALU_CYCLE_1)
	s_or_b32 exec_lo, exec_lo, s19
.LBB0_675:                              ;   in Loop: Header=BB0_489 Depth=2
	s_delay_alu instid0(SALU_CYCLE_1) | instskip(SKIP_2) | instid1(VALU_DEP_1)
	s_or_b32 exec_lo, exec_lo, s7
	v_alignbit_b32 v54, v44, v45, v46
	s_mov_b32 s7, exec_lo
	v_and_b32_e32 v5, 0xff, v54
	s_delay_alu instid0(VALU_DEP_1)
	v_cmpx_ne_u16_e32 0, v5
	s_cbranch_execz .LBB0_685
; %bb.676:                              ;   in Loop: Header=BB0_489 Depth=2
	v_bfe_i32 v30, v54, 0, 8
	v_bfrev_b32_e32 v2, 1
	s_mov_b32 s19, exec_lo
	s_delay_alu instid0(VALU_DEP_2)
	v_cmpx_ne_u16_e32 0xff80, v30
	s_cbranch_execz .LBB0_684
; %bb.677:                              ;   in Loop: Header=BB0_489 Depth=2
	v_and_b32_e32 v2, 0x7c, v54
	v_and_b32_e32 v5, 3, v54
	s_delay_alu instid0(VALU_DEP_2) | instskip(SKIP_1) | instid1(SALU_CYCLE_1)
	v_cmp_ne_u32_e32 vcc_lo, 0x7c, v2
                                        ; implicit-def: $vgpr2
	s_and_saveexec_b32 s20, vcc_lo
	s_xor_b32 s20, exec_lo, s20
	s_cbranch_execz .LBB0_681
; %bb.678:                              ;   in Loop: Header=BB0_489 Depth=2
	v_bfe_u32 v2, v54, 2, 5
	s_mov_b32 s21, exec_lo
	s_delay_alu instid0(VALU_DEP_1)
	v_cmpx_eq_u32_e32 0, v2
; %bb.679:                              ;   in Loop: Header=BB0_489 Depth=2
	v_clz_i32_u32_e32 v2, v5
	s_delay_alu instid0(VALU_DEP_1) | instskip(NEXT) | instid1(VALU_DEP_1)
	v_min_u32_e32 v2, 32, v2
	v_subrev_nc_u32_e32 v5, 29, v2
	v_sub_nc_u32_e32 v2, 30, v2
	s_delay_alu instid0(VALU_DEP_2) | instskip(NEXT) | instid1(VALU_DEP_1)
	v_lshlrev_b64_e32 v[118:119], v5, v[54:55]
	v_and_b32_e32 v5, 3, v118
; %bb.680:                              ;   in Loop: Header=BB0_489 Depth=2
	s_or_b32 exec_lo, exec_lo, s21
	v_lshlrev_b32_e32 v30, 24, v54
	s_delay_alu instid0(VALU_DEP_1) | instskip(NEXT) | instid1(VALU_DEP_1)
	v_and_b32_e32 v30, 0x80000000, v30
	v_lshl_add_u32 v2, v2, 23, v30
                                        ; implicit-def: $vgpr30
	s_delay_alu instid0(VALU_DEP_1) | instskip(NEXT) | instid1(VALU_DEP_1)
	v_lshl_or_b32 v2, v5, 21, v2
                                        ; implicit-def: $vgpr5
	v_add_nc_u32_e32 v2, 0x38000000, v2
.LBB0_681:                              ;   in Loop: Header=BB0_489 Depth=2
	s_and_not1_saveexec_b32 s20, s20
; %bb.682:                              ;   in Loop: Header=BB0_489 Depth=2
	v_cmp_lt_i16_e32 vcc_lo, -1, v30
	v_cndmask_b32_e32 v2, 0xff800000, v21, vcc_lo
	v_cmp_eq_u32_e32 vcc_lo, 0, v5
	s_delay_alu instid0(VALU_DEP_2)
	v_cndmask_b32_e32 v2, 0x7f800001, v2, vcc_lo
; %bb.683:                              ;   in Loop: Header=BB0_489 Depth=2
	s_or_b32 exec_lo, exec_lo, s20
.LBB0_684:                              ;   in Loop: Header=BB0_489 Depth=2
	s_delay_alu instid0(SALU_CYCLE_1)
	s_or_b32 exec_lo, exec_lo, s19
.LBB0_685:                              ;   in Loop: Header=BB0_489 Depth=2
	s_delay_alu instid0(SALU_CYCLE_1) | instskip(NEXT) | instid1(VALU_DEP_1)
	s_or_b32 exec_lo, exec_lo, s7
	v_mul_f32_e32 v30, v3, v2
	v_dual_mov_b32 v119, v55 :: v_dual_mov_b32 v3, v55
                                        ; implicit-def: $vgpr44
	s_mov_b32 s7, exec_lo
	s_delay_alu instid0(VALU_DEP_2) | instskip(SKIP_2) | instid1(VALU_DEP_3)
	v_and_b32_e32 v118, 0x7f800000, v30
	v_and_b32_e32 v2, 0x7fffff, v30
	v_lshrrev_b32_e32 v5, 24, v30
	v_cmpx_ne_u64_e32 0x7f800000, v[118:119]
	s_xor_b32 s19, exec_lo, s7
	s_cbranch_execz .LBB0_699
; %bb.686:                              ;   in Loop: Header=BB0_489 Depth=2
	v_and_b32_e32 v118, 0x7fffffff, v30
	v_mov_b32_e32 v119, v55
	v_and_b32_e32 v5, 0x80, v5
                                        ; implicit-def: $vgpr44
	s_mov_b32 s7, exec_lo
	s_delay_alu instid0(VALU_DEP_2)
	v_cmpx_gt_u64_e32 0x47600001, v[118:119]
	s_xor_b32 s20, exec_lo, s7
	s_cbranch_execz .LBB0_696
; %bb.687:                              ;   in Loop: Header=BB0_489 Depth=2
	v_mov_b32_e32 v44, 0
	s_mov_b32 s21, exec_lo
	v_cmpx_ne_u32_e32 0, v30
	s_cbranch_execz .LBB0_695
; %bb.688:                              ;   in Loop: Header=BB0_489 Depth=2
	v_bfe_u32 v30, v30, 23, 8
	v_or_b32_e32 v45, 0x800000, v2
	s_delay_alu instid0(VALU_DEP_2) | instskip(SKIP_1) | instid1(VALU_DEP_2)
	v_sub_nc_u32_e32 v118, 0x71, v30
	v_cmp_gt_u32_e32 vcc_lo, 0x72, v30
	v_cndmask_b32_e32 v118, 0, v118, vcc_lo
	v_cmp_eq_u32_e32 vcc_lo, 0, v30
	s_delay_alu instid0(VALU_DEP_2) | instskip(NEXT) | instid1(VALU_DEP_1)
	v_cndmask_b32_e64 v44, v118, 0x70, vcc_lo
	v_dual_cndmask_b32 v2, v45, v2, vcc_lo :: v_dual_add_nc_u32 v118, 21, v44
	v_add_nc_u32_e32 v46, 20, v44
	s_delay_alu instid0(VALU_DEP_2) | instskip(NEXT) | instid1(VALU_DEP_2)
	v_lshlrev_b64_e64 v[118:119], v118, -1
	v_lshlrev_b64_e64 v[46:47], v46, 1
	s_delay_alu instid0(VALU_DEP_2) | instskip(SKIP_1) | instid1(VALU_DEP_4)
	v_bfi_b32 v118, v118, 0, v2
	v_lshrrev_b64 v[2:3], v44, v[2:3]
	v_bfi_b32 v119, v119, 0, 0
	s_delay_alu instid0(VALU_DEP_1) | instskip(NEXT) | instid1(VALU_DEP_3)
	v_cmp_eq_u64_e64 s7, v[118:119], v[46:47]
	v_mov_b64_e32 v[118:119], v[2:3]
	s_and_saveexec_b32 s22, s7
; %bb.689:                              ;   in Loop: Header=BB0_489 Depth=2
	v_bfe_u32 v118, v2, 21, 1
	v_mov_b32_e32 v119, v55
	s_delay_alu instid0(VALU_DEP_1) | instskip(NEXT) | instid1(VALU_DEP_1)
	v_add_nc_u64_e32 v[118:119], v[2:3], v[118:119]
	v_add_nc_u64_e32 v[118:119], -1, v[118:119]
; %bb.690:                              ;   in Loop: Header=BB0_489 Depth=2
	s_or_b32 exec_lo, exec_lo, s22
	v_add_nc_u32_e32 v3, 0xffffff81, v30
	v_lshrrev_b32_e32 v30, 23, v2
	s_mov_b32 s7, exec_lo
	s_delay_alu instid0(VALU_DEP_2) | instskip(NEXT) | instid1(VALU_DEP_1)
	v_cndmask_b32_e64 v3, v3, 0xffffff82, vcc_lo
	v_add3_u32 v119, v44, v3, v30
	v_and_b32_e32 v3, 0x1fffff, v118
                                        ; implicit-def: $vgpr30
	s_delay_alu instid0(VALU_DEP_1) | instskip(SKIP_1) | instid1(VALU_DEP_2)
	v_dual_add_nc_u32 v118, 14, v119 :: v_dual_add_nc_u32 v2, v3, v2
	v_mov_b32_e32 v3, v55
	v_cmpx_ne_u32_e32 0, v118
	s_xor_b32 s7, exec_lo, s7
; %bb.691:                              ;   in Loop: Header=BB0_489 Depth=2
	s_delay_alu instid0(VALU_DEP_2) | instskip(SKIP_1) | instid1(VALU_DEP_1)
	v_cmp_lt_u64_e32 vcc_lo, 0xffffff, v[2:3]
	v_add_nc_u32_e32 v30, 15, v119
	v_cndmask_b32_e32 v30, v118, v30, vcc_lo
	v_cndmask_b32_e64 v118, 0, 1, vcc_lo
	s_delay_alu instid0(VALU_DEP_1)
	v_lshrrev_b64 v[2:3], v118, v[2:3]
; %bb.692:                              ;   in Loop: Header=BB0_489 Depth=2
	s_and_not1_saveexec_b32 s7, s7
; %bb.693:                              ;   in Loop: Header=BB0_489 Depth=2
	s_delay_alu instid0(VALU_DEP_1)
	v_bfe_u32 v30, v2, 23, 1
; %bb.694:                              ;   in Loop: Header=BB0_489 Depth=2
	s_or_b32 exec_lo, exec_lo, s7
	s_delay_alu instid0(VALU_DEP_2) | instskip(NEXT) | instid1(VALU_DEP_2)
	v_lshrrev_b64 v[2:3], 21, v[2:3]
	v_cmp_gt_i32_e32 vcc_lo, 32, v30
	v_min_i32_e32 v118, 31, v30
	v_cmp_eq_u32_e64 s7, 0, v30
	s_delay_alu instid0(VALU_DEP_2) | instskip(SKIP_1) | instid1(VALU_DEP_2)
	v_dual_cndmask_b32 v3, 0, v3 :: v_dual_lshlrev_b32 v118, 2, v118
	v_cndmask_b32_e32 v2, 3, v2, vcc_lo
	v_and_b32_e32 v118, 0xfc, v118
	s_delay_alu instid0(VALU_DEP_2) | instskip(NEXT) | instid1(VALU_DEP_2)
	v_cmp_eq_u64_e32 vcc_lo, 0, v[2:3]
	v_and_or_b32 v2, v2, 3, v118
	s_and_b32 s7, s7, vcc_lo
	s_delay_alu instid0(VALU_DEP_1) | instid1(SALU_CYCLE_1)
	v_cndmask_b32_e64 v2, v2, 0, s7
	s_delay_alu instid0(VALU_DEP_1)
	v_or_b32_e32 v44, v2, v5
.LBB0_695:                              ;   in Loop: Header=BB0_489 Depth=2
	s_or_b32 exec_lo, exec_lo, s21
                                        ; implicit-def: $vgpr5
.LBB0_696:                              ;   in Loop: Header=BB0_489 Depth=2
	s_and_not1_saveexec_b32 s7, s20
; %bb.697:                              ;   in Loop: Header=BB0_489 Depth=2
	v_or_b32_e32 v44, 0x7b, v5
; %bb.698:                              ;   in Loop: Header=BB0_489 Depth=2
	s_or_b32 exec_lo, exec_lo, s7
                                        ; implicit-def: $vgpr30
                                        ; implicit-def: $vgpr2_vgpr3
                                        ; implicit-def: $vgpr5
.LBB0_699:                              ;   in Loop: Header=BB0_489 Depth=2
	s_and_not1_saveexec_b32 s7, s19
	s_cbranch_execz .LBB0_705
; %bb.700:                              ;   in Loop: Header=BB0_489 Depth=2
	s_mov_b32 s19, exec_lo
                                        ; implicit-def: $vgpr44
	v_cmpx_ne_u64_e32 0, v[2:3]
	s_xor_b32 s19, exec_lo, s19
; %bb.701:                              ;   in Loop: Header=BB0_489 Depth=2
	v_or_b32_e32 v44, 0x7f, v5
                                        ; implicit-def: $vgpr30
; %bb.702:                              ;   in Loop: Header=BB0_489 Depth=2
	s_and_not1_saveexec_b32 s19, s19
; %bb.703:                              ;   in Loop: Header=BB0_489 Depth=2
	v_cmp_lt_i32_e32 vcc_lo, -1, v30
	v_cndmask_b32_e32 v44, 0xfc, v58, vcc_lo
; %bb.704:                              ;   in Loop: Header=BB0_489 Depth=2
	s_or_b32 exec_lo, exec_lo, s19
.LBB0_705:                              ;   in Loop: Header=BB0_489 Depth=2
	s_delay_alu instid0(SALU_CYCLE_1) | instskip(SKIP_3) | instid1(VALU_DEP_2)
	s_or_b32 exec_lo, exec_lo, s7
	v_lshrrev_b16 v2, 8, v4
	v_dual_mov_b32 v5, 0 :: v_dual_mov_b32 v30, 0
	s_mov_b32 s7, exec_lo
	v_cmpx_ne_u16_e32 0, v2
	s_cbranch_execz .LBB0_715
; %bb.706:                              ;   in Loop: Header=BB0_489 Depth=2
	v_bfrev_b32_e32 v30, 1
	s_mov_b32 s19, exec_lo
	v_cmpx_ne_u16_e32 0x80, v2
	s_cbranch_execz .LBB0_714
; %bb.707:                              ;   in Loop: Header=BB0_489 Depth=2
	v_and_b32_e32 v118, 0xffff, v2
	s_delay_alu instid0(VALU_DEP_1) | instskip(SKIP_1) | instid1(VALU_DEP_2)
	v_and_b32_e32 v30, 0x7c, v118
	v_and_b32_e32 v3, 3, v118
	v_cmp_ne_u32_e32 vcc_lo, 0x7c, v30
                                        ; implicit-def: $vgpr30
	s_and_saveexec_b32 s20, vcc_lo
	s_delay_alu instid0(SALU_CYCLE_1)
	s_xor_b32 s20, exec_lo, s20
	s_cbranch_execz .LBB0_711
; %bb.708:                              ;   in Loop: Header=BB0_489 Depth=2
	v_bfe_u32 v30, v118, 2, 5
	s_mov_b32 s21, exec_lo
	s_delay_alu instid0(VALU_DEP_1)
	v_cmpx_eq_u32_e32 0, v30
	s_cbranch_execz .LBB0_710
; %bb.709:                              ;   in Loop: Header=BB0_489 Depth=2
	v_clz_i32_u32_e32 v3, v3
	s_delay_alu instid0(VALU_DEP_1) | instskip(SKIP_1) | instid1(VALU_DEP_2)
	v_min_u32_e32 v30, 32, v3
	v_mov_b32_e32 v3, v55
	v_subrev_nc_u32_e32 v118, 29, v30
	v_sub_nc_u32_e32 v30, 30, v30
	s_delay_alu instid0(VALU_DEP_2) | instskip(NEXT) | instid1(VALU_DEP_1)
	v_lshlrev_b64_e32 v[2:3], v118, v[2:3]
	v_and_b32_e32 v3, 3, v2
.LBB0_710:                              ;   in Loop: Header=BB0_489 Depth=2
	s_or_b32 exec_lo, exec_lo, s21
	v_lshlrev_b32_e32 v2, 16, v4
	s_delay_alu instid0(VALU_DEP_1) | instskip(NEXT) | instid1(VALU_DEP_1)
	v_and_b32_e32 v2, 0x80000000, v2
	v_lshl_add_u32 v2, v30, 23, v2
	s_delay_alu instid0(VALU_DEP_1) | instskip(NEXT) | instid1(VALU_DEP_1)
	v_lshl_or_b32 v2, v3, 21, v2
                                        ; implicit-def: $vgpr3
	v_add_nc_u32_e32 v30, 0x38000000, v2
.LBB0_711:                              ;   in Loop: Header=BB0_489 Depth=2
	s_and_not1_saveexec_b32 s20, s20
; %bb.712:                              ;   in Loop: Header=BB0_489 Depth=2
	v_cmp_lt_i16_e32 vcc_lo, -1, v4
	v_cndmask_b32_e32 v2, 0xff800000, v21, vcc_lo
	v_cmp_eq_u32_e32 vcc_lo, 0, v3
	s_delay_alu instid0(VALU_DEP_2)
	v_cndmask_b32_e32 v30, 0x7f800001, v2, vcc_lo
; %bb.713:                              ;   in Loop: Header=BB0_489 Depth=2
	s_or_b32 exec_lo, exec_lo, s20
.LBB0_714:                              ;   in Loop: Header=BB0_489 Depth=2
	s_delay_alu instid0(SALU_CYCLE_1)
	s_or_b32 exec_lo, exec_lo, s19
.LBB0_715:                              ;   in Loop: Header=BB0_489 Depth=2
	s_delay_alu instid0(SALU_CYCLE_1) | instskip(SKIP_2) | instid1(VALU_DEP_1)
	s_or_b32 exec_lo, exec_lo, s7
	v_lshrrev_b16 v2, 8, v54
	s_mov_b32 s7, exec_lo
	v_cmpx_ne_u16_e32 0, v2
	s_cbranch_execz .LBB0_725
; %bb.716:                              ;   in Loop: Header=BB0_489 Depth=2
	v_bfrev_b32_e32 v5, 1
	s_mov_b32 s19, exec_lo
	v_cmpx_ne_u16_e32 0x80, v2
	s_cbranch_execz .LBB0_724
; %bb.717:                              ;   in Loop: Header=BB0_489 Depth=2
	v_and_b32_e32 v118, 0xffff, v2
	s_delay_alu instid0(VALU_DEP_1) | instskip(SKIP_1) | instid1(VALU_DEP_2)
	v_and_b32_e32 v5, 0x7c, v118
	v_and_b32_e32 v3, 3, v118
	v_cmp_ne_u32_e32 vcc_lo, 0x7c, v5
                                        ; implicit-def: $vgpr5
	s_and_saveexec_b32 s20, vcc_lo
	s_delay_alu instid0(SALU_CYCLE_1)
	s_xor_b32 s20, exec_lo, s20
	s_cbranch_execz .LBB0_721
; %bb.718:                              ;   in Loop: Header=BB0_489 Depth=2
	v_bfe_u32 v5, v118, 2, 5
	s_mov_b32 s21, exec_lo
	s_delay_alu instid0(VALU_DEP_1)
	v_cmpx_eq_u32_e32 0, v5
	s_cbranch_execz .LBB0_720
; %bb.719:                              ;   in Loop: Header=BB0_489 Depth=2
	v_clz_i32_u32_e32 v3, v3
	s_delay_alu instid0(VALU_DEP_1) | instskip(SKIP_1) | instid1(VALU_DEP_2)
	v_min_u32_e32 v5, 32, v3
	v_mov_b32_e32 v3, v55
	v_subrev_nc_u32_e32 v118, 29, v5
	v_sub_nc_u32_e32 v5, 30, v5
	s_delay_alu instid0(VALU_DEP_2) | instskip(NEXT) | instid1(VALU_DEP_1)
	v_lshlrev_b64_e32 v[2:3], v118, v[2:3]
	v_and_b32_e32 v3, 3, v2
.LBB0_720:                              ;   in Loop: Header=BB0_489 Depth=2
	s_or_b32 exec_lo, exec_lo, s21
	v_lshlrev_b32_e32 v2, 16, v54
	s_delay_alu instid0(VALU_DEP_1) | instskip(NEXT) | instid1(VALU_DEP_1)
	v_and_b32_e32 v2, 0x80000000, v2
	v_lshl_add_u32 v2, v5, 23, v2
	s_delay_alu instid0(VALU_DEP_1) | instskip(NEXT) | instid1(VALU_DEP_1)
	v_lshl_or_b32 v2, v3, 21, v2
                                        ; implicit-def: $vgpr3
	v_add_nc_u32_e32 v5, 0x38000000, v2
.LBB0_721:                              ;   in Loop: Header=BB0_489 Depth=2
	s_and_not1_saveexec_b32 s20, s20
; %bb.722:                              ;   in Loop: Header=BB0_489 Depth=2
	v_cmp_lt_i16_e32 vcc_lo, -1, v54
	v_cndmask_b32_e32 v2, 0xff800000, v21, vcc_lo
	v_cmp_eq_u32_e32 vcc_lo, 0, v3
	s_delay_alu instid0(VALU_DEP_2)
	v_cndmask_b32_e32 v5, 0x7f800001, v2, vcc_lo
; %bb.723:                              ;   in Loop: Header=BB0_489 Depth=2
	s_or_b32 exec_lo, exec_lo, s20
.LBB0_724:                              ;   in Loop: Header=BB0_489 Depth=2
	s_delay_alu instid0(SALU_CYCLE_1)
	s_or_b32 exec_lo, exec_lo, s19
.LBB0_725:                              ;   in Loop: Header=BB0_489 Depth=2
	s_delay_alu instid0(SALU_CYCLE_1) | instskip(NEXT) | instid1(VALU_DEP_1)
	s_or_b32 exec_lo, exec_lo, s7
	v_dual_mul_f32 v30, v30, v5 :: v_dual_mov_b32 v119, v55
	v_mov_b32_e32 v3, v55
                                        ; implicit-def: $vgpr45
	s_mov_b32 s7, exec_lo
	s_delay_alu instid0(VALU_DEP_2) | instskip(SKIP_2) | instid1(VALU_DEP_3)
	v_and_b32_e32 v118, 0x7f800000, v30
	v_and_b32_e32 v2, 0x7fffff, v30
	v_lshrrev_b32_e32 v5, 24, v30
	v_cmpx_ne_u64_e32 0x7f800000, v[118:119]
	s_xor_b32 s19, exec_lo, s7
	s_cbranch_execz .LBB0_739
; %bb.726:                              ;   in Loop: Header=BB0_489 Depth=2
	v_and_b32_e32 v118, 0x7fffffff, v30
	v_mov_b32_e32 v119, v55
	v_and_b32_e32 v5, 0x80, v5
                                        ; implicit-def: $vgpr45
	s_mov_b32 s7, exec_lo
	s_delay_alu instid0(VALU_DEP_2)
	v_cmpx_gt_u64_e32 0x47600001, v[118:119]
	s_xor_b32 s20, exec_lo, s7
	s_cbranch_execz .LBB0_736
; %bb.727:                              ;   in Loop: Header=BB0_489 Depth=2
	v_mov_b32_e32 v45, 0
	s_mov_b32 s21, exec_lo
	v_cmpx_ne_u32_e32 0, v30
	s_cbranch_execz .LBB0_735
; %bb.728:                              ;   in Loop: Header=BB0_489 Depth=2
	v_bfe_u32 v30, v30, 23, 8
	v_or_b32_e32 v46, 0x800000, v2
	s_delay_alu instid0(VALU_DEP_2) | instskip(SKIP_1) | instid1(VALU_DEP_2)
	v_sub_nc_u32_e32 v118, 0x71, v30
	v_cmp_gt_u32_e32 vcc_lo, 0x72, v30
	v_cndmask_b32_e32 v118, 0, v118, vcc_lo
	v_cmp_eq_u32_e32 vcc_lo, 0, v30
	s_delay_alu instid0(VALU_DEP_2) | instskip(NEXT) | instid1(VALU_DEP_1)
	v_cndmask_b32_e64 v45, v118, 0x70, vcc_lo
	v_dual_cndmask_b32 v2, v46, v2, vcc_lo :: v_dual_add_nc_u32 v118, 21, v45
	v_add_nc_u32_e32 v47, 20, v45
	s_delay_alu instid0(VALU_DEP_2) | instskip(NEXT) | instid1(VALU_DEP_2)
	v_lshlrev_b64_e64 v[118:119], v118, -1
	v_lshlrev_b64_e64 v[46:47], v47, 1
	s_delay_alu instid0(VALU_DEP_2) | instskip(SKIP_1) | instid1(VALU_DEP_4)
	v_bfi_b32 v118, v118, 0, v2
	v_lshrrev_b64 v[2:3], v45, v[2:3]
	v_bfi_b32 v119, v119, 0, 0
	s_delay_alu instid0(VALU_DEP_1) | instskip(NEXT) | instid1(VALU_DEP_3)
	v_cmp_eq_u64_e64 s7, v[118:119], v[46:47]
	v_mov_b64_e32 v[118:119], v[2:3]
	s_and_saveexec_b32 s22, s7
; %bb.729:                              ;   in Loop: Header=BB0_489 Depth=2
	v_bfe_u32 v118, v2, 21, 1
	v_mov_b32_e32 v119, v55
	s_delay_alu instid0(VALU_DEP_1) | instskip(NEXT) | instid1(VALU_DEP_1)
	v_add_nc_u64_e32 v[118:119], v[2:3], v[118:119]
	v_add_nc_u64_e32 v[118:119], -1, v[118:119]
; %bb.730:                              ;   in Loop: Header=BB0_489 Depth=2
	s_or_b32 exec_lo, exec_lo, s22
	v_add_nc_u32_e32 v3, 0xffffff81, v30
	v_lshrrev_b32_e32 v30, 23, v2
	s_mov_b32 s7, exec_lo
	s_delay_alu instid0(VALU_DEP_2) | instskip(NEXT) | instid1(VALU_DEP_1)
	v_cndmask_b32_e64 v3, v3, 0xffffff82, vcc_lo
	v_add3_u32 v119, v45, v3, v30
	v_and_b32_e32 v3, 0x1fffff, v118
                                        ; implicit-def: $vgpr30
	s_delay_alu instid0(VALU_DEP_1) | instskip(SKIP_1) | instid1(VALU_DEP_2)
	v_dual_add_nc_u32 v118, 14, v119 :: v_dual_add_nc_u32 v2, v3, v2
	v_mov_b32_e32 v3, v55
	v_cmpx_ne_u32_e32 0, v118
	s_xor_b32 s7, exec_lo, s7
; %bb.731:                              ;   in Loop: Header=BB0_489 Depth=2
	s_delay_alu instid0(VALU_DEP_2) | instskip(SKIP_1) | instid1(VALU_DEP_1)
	v_cmp_lt_u64_e32 vcc_lo, 0xffffff, v[2:3]
	v_add_nc_u32_e32 v30, 15, v119
	v_cndmask_b32_e32 v30, v118, v30, vcc_lo
	v_cndmask_b32_e64 v118, 0, 1, vcc_lo
	s_delay_alu instid0(VALU_DEP_1)
	v_lshrrev_b64 v[2:3], v118, v[2:3]
; %bb.732:                              ;   in Loop: Header=BB0_489 Depth=2
	s_and_not1_saveexec_b32 s7, s7
; %bb.733:                              ;   in Loop: Header=BB0_489 Depth=2
	s_delay_alu instid0(VALU_DEP_1)
	v_bfe_u32 v30, v2, 23, 1
; %bb.734:                              ;   in Loop: Header=BB0_489 Depth=2
	s_or_b32 exec_lo, exec_lo, s7
	s_delay_alu instid0(VALU_DEP_2) | instskip(NEXT) | instid1(VALU_DEP_2)
	v_lshrrev_b64 v[2:3], 21, v[2:3]
	v_cmp_gt_i32_e32 vcc_lo, 32, v30
	v_min_i32_e32 v118, 31, v30
	v_cmp_eq_u32_e64 s7, 0, v30
	s_delay_alu instid0(VALU_DEP_2) | instskip(SKIP_1) | instid1(VALU_DEP_2)
	v_dual_cndmask_b32 v3, 0, v3 :: v_dual_lshlrev_b32 v118, 2, v118
	v_cndmask_b32_e32 v2, 3, v2, vcc_lo
	v_and_b32_e32 v118, 0xfc, v118
	s_delay_alu instid0(VALU_DEP_2) | instskip(NEXT) | instid1(VALU_DEP_2)
	v_cmp_eq_u64_e32 vcc_lo, 0, v[2:3]
	v_and_or_b32 v2, v2, 3, v118
	s_and_b32 s7, s7, vcc_lo
	s_delay_alu instid0(VALU_DEP_1) | instid1(SALU_CYCLE_1)
	v_cndmask_b32_e64 v2, v2, 0, s7
	s_delay_alu instid0(VALU_DEP_1)
	v_or_b32_e32 v45, v2, v5
.LBB0_735:                              ;   in Loop: Header=BB0_489 Depth=2
	s_or_b32 exec_lo, exec_lo, s21
                                        ; implicit-def: $vgpr5
.LBB0_736:                              ;   in Loop: Header=BB0_489 Depth=2
	s_and_not1_saveexec_b32 s7, s20
; %bb.737:                              ;   in Loop: Header=BB0_489 Depth=2
	v_or_b32_e32 v45, 0x7b, v5
; %bb.738:                              ;   in Loop: Header=BB0_489 Depth=2
	s_or_b32 exec_lo, exec_lo, s7
                                        ; implicit-def: $vgpr30
                                        ; implicit-def: $vgpr2_vgpr3
                                        ; implicit-def: $vgpr5
.LBB0_739:                              ;   in Loop: Header=BB0_489 Depth=2
	s_and_not1_saveexec_b32 s7, s19
	s_cbranch_execz .LBB0_745
; %bb.740:                              ;   in Loop: Header=BB0_489 Depth=2
	s_mov_b32 s19, exec_lo
                                        ; implicit-def: $vgpr45
	v_cmpx_ne_u64_e32 0, v[2:3]
	s_xor_b32 s19, exec_lo, s19
; %bb.741:                              ;   in Loop: Header=BB0_489 Depth=2
	v_or_b32_e32 v45, 0x7f, v5
                                        ; implicit-def: $vgpr30
; %bb.742:                              ;   in Loop: Header=BB0_489 Depth=2
	s_and_not1_saveexec_b32 s19, s19
; %bb.743:                              ;   in Loop: Header=BB0_489 Depth=2
	v_cmp_lt_i32_e32 vcc_lo, -1, v30
	v_cndmask_b32_e32 v45, 0xfc, v58, vcc_lo
; %bb.744:                              ;   in Loop: Header=BB0_489 Depth=2
	s_or_b32 exec_lo, exec_lo, s19
.LBB0_745:                              ;   in Loop: Header=BB0_489 Depth=2
	s_delay_alu instid0(SALU_CYCLE_1) | instskip(SKIP_3) | instid1(VALU_DEP_2)
	s_or_b32 exec_lo, exec_lo, s7
	v_dual_mov_b32 v3, 0 :: v_dual_lshrrev_b32 v2, 16, v4
	v_mov_b32_e32 v5, 0
	s_mov_b32 s7, exec_lo
	v_and_b32_e32 v30, 0xff, v2
	s_delay_alu instid0(VALU_DEP_1)
	v_cmpx_ne_u16_e32 0, v30
	s_cbranch_execz .LBB0_755
; %bb.746:                              ;   in Loop: Header=BB0_489 Depth=2
	v_bfrev_b32_e32 v5, 1
	s_mov_b32 s19, exec_lo
	v_cmpx_ne_u16_e32 0x80, v30
	s_cbranch_execz .LBB0_754
; %bb.747:                              ;   in Loop: Header=BB0_489 Depth=2
	v_and_b32_e32 v5, 0x7c0000, v4
	v_bfe_u32 v30, v4, 16, 2
	s_delay_alu instid0(VALU_DEP_2) | instskip(SKIP_1) | instid1(SALU_CYCLE_1)
	v_cmp_ne_u32_e32 vcc_lo, 0x7c0000, v5
                                        ; implicit-def: $vgpr5
	s_and_saveexec_b32 s20, vcc_lo
	s_xor_b32 s20, exec_lo, s20
	s_cbranch_execz .LBB0_751
; %bb.748:                              ;   in Loop: Header=BB0_489 Depth=2
	v_bfe_u32 v5, v4, 18, 5
	s_mov_b32 s21, exec_lo
	s_delay_alu instid0(VALU_DEP_1)
	v_cmpx_eq_u32_e32 0, v5
; %bb.749:                              ;   in Loop: Header=BB0_489 Depth=2
	v_clz_i32_u32_e32 v5, v30
	s_delay_alu instid0(VALU_DEP_1) | instskip(NEXT) | instid1(VALU_DEP_1)
	v_min_u32_e32 v5, 32, v5
	v_subrev_nc_u32_e32 v30, 29, v5
	s_delay_alu instid0(VALU_DEP_1) | instskip(NEXT) | instid1(VALU_DEP_1)
	v_lshlrev_b64_e32 v[118:119], v30, v[2:3]
	v_dual_sub_nc_u32 v5, 30, v5 :: v_dual_bitop2_b32 v30, 3, v118 bitop3:0x40
; %bb.750:                              ;   in Loop: Header=BB0_489 Depth=2
	s_or_b32 exec_lo, exec_lo, s21
	v_lshlrev_b32_e32 v2, 24, v2
	s_delay_alu instid0(VALU_DEP_1) | instskip(NEXT) | instid1(VALU_DEP_1)
	v_and_b32_e32 v2, 0x80000000, v2
	v_lshl_add_u32 v2, v5, 23, v2
	s_delay_alu instid0(VALU_DEP_1) | instskip(NEXT) | instid1(VALU_DEP_1)
	v_lshl_or_b32 v2, v30, 21, v2
                                        ; implicit-def: $vgpr30
	v_add_nc_u32_e32 v5, 0x38000000, v2
                                        ; implicit-def: $vgpr2
.LBB0_751:                              ;   in Loop: Header=BB0_489 Depth=2
	s_and_not1_saveexec_b32 s20, s20
; %bb.752:                              ;   in Loop: Header=BB0_489 Depth=2
	v_bfe_i32 v2, v2, 0, 8
	s_delay_alu instid0(VALU_DEP_1) | instskip(SKIP_2) | instid1(VALU_DEP_2)
	v_cmp_lt_i16_e32 vcc_lo, -1, v2
	v_cndmask_b32_e32 v2, 0xff800000, v21, vcc_lo
	v_cmp_eq_u32_e32 vcc_lo, 0, v30
	v_cndmask_b32_e32 v5, 0x7f800001, v2, vcc_lo
; %bb.753:                              ;   in Loop: Header=BB0_489 Depth=2
	s_or_b32 exec_lo, exec_lo, s20
.LBB0_754:                              ;   in Loop: Header=BB0_489 Depth=2
	s_delay_alu instid0(SALU_CYCLE_1)
	s_or_b32 exec_lo, exec_lo, s19
.LBB0_755:                              ;   in Loop: Header=BB0_489 Depth=2
	s_delay_alu instid0(SALU_CYCLE_1) | instskip(SKIP_2) | instid1(VALU_DEP_1)
	s_or_b32 exec_lo, exec_lo, s7
	v_lshrrev_b32_e32 v2, 16, v54
	s_mov_b32 s7, exec_lo
	v_and_b32_e32 v30, 0xff, v2
	s_delay_alu instid0(VALU_DEP_1)
	v_cmpx_ne_u16_e32 0, v30
	s_cbranch_execz .LBB0_765
; %bb.756:                              ;   in Loop: Header=BB0_489 Depth=2
	v_bfrev_b32_e32 v3, 1
	s_mov_b32 s19, exec_lo
	v_cmpx_ne_u16_e32 0x80, v30
	s_cbranch_execz .LBB0_764
; %bb.757:                              ;   in Loop: Header=BB0_489 Depth=2
	v_and_b32_e32 v3, 0x7c0000, v54
	v_bfe_u32 v30, v54, 16, 2
	s_delay_alu instid0(VALU_DEP_2) | instskip(SKIP_1) | instid1(SALU_CYCLE_1)
	v_cmp_ne_u32_e32 vcc_lo, 0x7c0000, v3
                                        ; implicit-def: $vgpr3
	s_and_saveexec_b32 s20, vcc_lo
	s_xor_b32 s20, exec_lo, s20
	s_cbranch_execz .LBB0_761
; %bb.758:                              ;   in Loop: Header=BB0_489 Depth=2
	v_bfe_u32 v3, v54, 18, 5
	s_mov_b32 s21, exec_lo
	s_delay_alu instid0(VALU_DEP_1)
	v_cmpx_eq_u32_e32 0, v3
; %bb.759:                              ;   in Loop: Header=BB0_489 Depth=2
	v_clz_i32_u32_e32 v3, v30
	s_delay_alu instid0(VALU_DEP_1) | instskip(NEXT) | instid1(VALU_DEP_1)
	v_min_u32_e32 v3, 32, v3
	v_subrev_nc_u32_e32 v30, 29, v3
	s_delay_alu instid0(VALU_DEP_1) | instskip(NEXT) | instid1(VALU_DEP_1)
	v_lshlrev_b64_e32 v[118:119], v30, v[2:3]
	v_dual_sub_nc_u32 v3, 30, v3 :: v_dual_bitop2_b32 v30, 3, v118 bitop3:0x40
; %bb.760:                              ;   in Loop: Header=BB0_489 Depth=2
	s_or_b32 exec_lo, exec_lo, s21
	v_lshlrev_b32_e32 v2, 24, v2
	s_delay_alu instid0(VALU_DEP_1) | instskip(NEXT) | instid1(VALU_DEP_1)
	v_and_b32_e32 v2, 0x80000000, v2
	v_lshl_add_u32 v2, v3, 23, v2
	s_delay_alu instid0(VALU_DEP_1) | instskip(NEXT) | instid1(VALU_DEP_1)
	v_lshl_or_b32 v2, v30, 21, v2
                                        ; implicit-def: $vgpr30
	v_add_nc_u32_e32 v3, 0x38000000, v2
                                        ; implicit-def: $vgpr2
.LBB0_761:                              ;   in Loop: Header=BB0_489 Depth=2
	s_and_not1_saveexec_b32 s20, s20
; %bb.762:                              ;   in Loop: Header=BB0_489 Depth=2
	v_bfe_i32 v2, v2, 0, 8
	s_delay_alu instid0(VALU_DEP_1) | instskip(SKIP_2) | instid1(VALU_DEP_2)
	v_cmp_lt_i16_e32 vcc_lo, -1, v2
	v_cndmask_b32_e32 v2, 0xff800000, v21, vcc_lo
	v_cmp_eq_u32_e32 vcc_lo, 0, v30
	v_cndmask_b32_e32 v3, 0x7f800001, v2, vcc_lo
; %bb.763:                              ;   in Loop: Header=BB0_489 Depth=2
	s_or_b32 exec_lo, exec_lo, s20
.LBB0_764:                              ;   in Loop: Header=BB0_489 Depth=2
	s_delay_alu instid0(SALU_CYCLE_1)
	s_or_b32 exec_lo, exec_lo, s19
.LBB0_765:                              ;   in Loop: Header=BB0_489 Depth=2
	s_delay_alu instid0(SALU_CYCLE_1) | instskip(NEXT) | instid1(VALU_DEP_1)
	s_or_b32 exec_lo, exec_lo, s7
	v_dual_mul_f32 v30, v5, v3 :: v_dual_mov_b32 v119, v55
	s_delay_alu instid0(VALU_DEP_1) | instskip(SKIP_2) | instid1(VALU_DEP_2)
	v_dual_mov_b32 v3, v55 :: v_dual_lshrrev_b32 v5, 24, v30
	v_and_b32_e32 v118, 0x7f800000, v30
	v_and_b32_e32 v2, 0x7fffff, v30
	v_cmp_ne_u64_e32 vcc_lo, 0x7f800000, v[118:119]
                                        ; implicit-def: $vgpr118
	s_and_saveexec_b32 s7, vcc_lo
	s_delay_alu instid0(SALU_CYCLE_1)
	s_xor_b32 s19, exec_lo, s7
	s_cbranch_execz .LBB0_779
; %bb.766:                              ;   in Loop: Header=BB0_489 Depth=2
	v_and_b32_e32 v118, 0x7fffffff, v30
	v_mov_b32_e32 v119, v55
	v_and_b32_e32 v5, 0x80, v5
	s_delay_alu instid0(VALU_DEP_2) | instskip(SKIP_1) | instid1(SALU_CYCLE_1)
	v_cmp_gt_u64_e32 vcc_lo, 0x47600001, v[118:119]
                                        ; implicit-def: $vgpr118
	s_and_saveexec_b32 s7, vcc_lo
	s_xor_b32 s20, exec_lo, s7
	s_cbranch_execz .LBB0_776
; %bb.767:                              ;   in Loop: Header=BB0_489 Depth=2
	v_mov_b32_e32 v118, 0
	s_mov_b32 s21, exec_lo
	v_cmpx_ne_u32_e32 0, v30
	s_cbranch_execz .LBB0_775
; %bb.768:                              ;   in Loop: Header=BB0_489 Depth=2
	v_bfe_u32 v30, v30, 23, 8
	v_or_b32_e32 v47, 0x800000, v2
	s_delay_alu instid0(VALU_DEP_2) | instskip(SKIP_1) | instid1(VALU_DEP_2)
	v_sub_nc_u32_e32 v118, 0x71, v30
	v_cmp_gt_u32_e32 vcc_lo, 0x72, v30
	v_cndmask_b32_e32 v118, 0, v118, vcc_lo
	v_cmp_eq_u32_e32 vcc_lo, 0, v30
	s_delay_alu instid0(VALU_DEP_2) | instskip(SKIP_1) | instid1(VALU_DEP_2)
	v_cndmask_b32_e64 v46, v118, 0x70, vcc_lo
	v_cndmask_b32_e32 v2, v47, v2, vcc_lo
	v_dual_add_nc_u32 v118, 21, v46 :: v_dual_add_nc_u32 v61, 20, v46
	s_delay_alu instid0(VALU_DEP_1) | instskip(NEXT) | instid1(VALU_DEP_2)
	v_lshlrev_b64_e64 v[118:119], v118, -1
	v_lshlrev_b64_e64 v[62:63], v61, 1
	s_delay_alu instid0(VALU_DEP_2) | instskip(SKIP_1) | instid1(VALU_DEP_4)
	v_bfi_b32 v118, v118, 0, v2
	v_lshrrev_b64 v[2:3], v46, v[2:3]
	v_bfi_b32 v119, v119, 0, 0
	s_delay_alu instid0(VALU_DEP_1) | instskip(NEXT) | instid1(VALU_DEP_3)
	v_cmp_eq_u64_e64 s7, v[118:119], v[62:63]
	v_mov_b64_e32 v[118:119], v[2:3]
	s_and_saveexec_b32 s22, s7
; %bb.769:                              ;   in Loop: Header=BB0_489 Depth=2
	v_bfe_u32 v118, v2, 21, 1
	v_mov_b32_e32 v119, v55
	s_delay_alu instid0(VALU_DEP_1) | instskip(NEXT) | instid1(VALU_DEP_1)
	v_add_nc_u64_e32 v[118:119], v[2:3], v[118:119]
	v_add_nc_u64_e32 v[118:119], -1, v[118:119]
; %bb.770:                              ;   in Loop: Header=BB0_489 Depth=2
	s_or_b32 exec_lo, exec_lo, s22
	v_add_nc_u32_e32 v3, 0xffffff81, v30
	v_lshrrev_b32_e32 v30, 23, v2
	s_mov_b32 s7, exec_lo
	s_delay_alu instid0(VALU_DEP_2) | instskip(NEXT) | instid1(VALU_DEP_1)
	v_cndmask_b32_e64 v3, v3, 0xffffff82, vcc_lo
	v_add3_u32 v119, v46, v3, v30
	v_and_b32_e32 v3, 0x1fffff, v118
                                        ; implicit-def: $vgpr30
	s_delay_alu instid0(VALU_DEP_1) | instskip(SKIP_1) | instid1(VALU_DEP_2)
	v_dual_add_nc_u32 v118, 14, v119 :: v_dual_add_nc_u32 v2, v3, v2
	v_mov_b32_e32 v3, v55
	v_cmpx_ne_u32_e32 0, v118
	s_xor_b32 s7, exec_lo, s7
; %bb.771:                              ;   in Loop: Header=BB0_489 Depth=2
	s_delay_alu instid0(VALU_DEP_2) | instskip(SKIP_1) | instid1(VALU_DEP_1)
	v_cmp_lt_u64_e32 vcc_lo, 0xffffff, v[2:3]
	v_add_nc_u32_e32 v30, 15, v119
	v_cndmask_b32_e32 v30, v118, v30, vcc_lo
	v_cndmask_b32_e64 v118, 0, 1, vcc_lo
	s_delay_alu instid0(VALU_DEP_1)
	v_lshrrev_b64 v[2:3], v118, v[2:3]
; %bb.772:                              ;   in Loop: Header=BB0_489 Depth=2
	s_and_not1_saveexec_b32 s7, s7
; %bb.773:                              ;   in Loop: Header=BB0_489 Depth=2
	s_delay_alu instid0(VALU_DEP_1)
	v_bfe_u32 v30, v2, 23, 1
; %bb.774:                              ;   in Loop: Header=BB0_489 Depth=2
	s_or_b32 exec_lo, exec_lo, s7
	s_delay_alu instid0(VALU_DEP_2) | instskip(NEXT) | instid1(VALU_DEP_2)
	v_lshrrev_b64 v[2:3], 21, v[2:3]
	v_cmp_gt_i32_e32 vcc_lo, 32, v30
	v_min_i32_e32 v118, 31, v30
	v_cmp_eq_u32_e64 s7, 0, v30
	s_delay_alu instid0(VALU_DEP_2) | instskip(SKIP_1) | instid1(VALU_DEP_2)
	v_dual_cndmask_b32 v3, 0, v3 :: v_dual_lshlrev_b32 v118, 2, v118
	v_cndmask_b32_e32 v2, 3, v2, vcc_lo
	v_and_b32_e32 v118, 0xfc, v118
	s_delay_alu instid0(VALU_DEP_2) | instskip(NEXT) | instid1(VALU_DEP_2)
	v_cmp_eq_u64_e32 vcc_lo, 0, v[2:3]
	v_and_or_b32 v2, v2, 3, v118
	s_and_b32 s7, s7, vcc_lo
	s_delay_alu instid0(VALU_DEP_1) | instid1(SALU_CYCLE_1)
	v_cndmask_b32_e64 v2, v2, 0, s7
	s_delay_alu instid0(VALU_DEP_1)
	v_or_b32_e32 v118, v2, v5
.LBB0_775:                              ;   in Loop: Header=BB0_489 Depth=2
	s_or_b32 exec_lo, exec_lo, s21
                                        ; implicit-def: $vgpr5
.LBB0_776:                              ;   in Loop: Header=BB0_489 Depth=2
	s_and_not1_saveexec_b32 s7, s20
; %bb.777:                              ;   in Loop: Header=BB0_489 Depth=2
	v_or_b32_e32 v118, 0x7b, v5
; %bb.778:                              ;   in Loop: Header=BB0_489 Depth=2
	s_or_b32 exec_lo, exec_lo, s7
                                        ; implicit-def: $vgpr30
                                        ; implicit-def: $vgpr2_vgpr3
                                        ; implicit-def: $vgpr5
.LBB0_779:                              ;   in Loop: Header=BB0_489 Depth=2
	s_and_not1_saveexec_b32 s7, s19
	s_cbranch_execz .LBB0_785
; %bb.780:                              ;   in Loop: Header=BB0_489 Depth=2
	s_mov_b32 s19, exec_lo
                                        ; implicit-def: $vgpr118
	v_cmpx_ne_u64_e32 0, v[2:3]
	s_xor_b32 s19, exec_lo, s19
; %bb.781:                              ;   in Loop: Header=BB0_489 Depth=2
	v_or_b32_e32 v118, 0x7f, v5
                                        ; implicit-def: $vgpr30
; %bb.782:                              ;   in Loop: Header=BB0_489 Depth=2
	s_and_not1_saveexec_b32 s19, s19
; %bb.783:                              ;   in Loop: Header=BB0_489 Depth=2
	v_cmp_lt_i32_e32 vcc_lo, -1, v30
	v_cndmask_b32_e32 v118, 0xfc, v58, vcc_lo
; %bb.784:                              ;   in Loop: Header=BB0_489 Depth=2
	s_or_b32 exec_lo, exec_lo, s19
.LBB0_785:                              ;   in Loop: Header=BB0_489 Depth=2
	s_delay_alu instid0(SALU_CYCLE_1) | instskip(SKIP_3) | instid1(VALU_DEP_2)
	s_or_b32 exec_lo, exec_lo, s7
	v_dual_mov_b32 v2, v55 :: v_dual_mov_b32 v3, v4
	v_dual_mov_b32 v5, 0 :: v_dual_mov_b32 v119, 0
	s_mov_b32 s7, exec_lo
	v_cmpx_lt_u64_e64 s[12:13], v[2:3]
	s_cbranch_execz .LBB0_795
; %bb.786:                              ;   in Loop: Header=BB0_489 Depth=2
	v_lshrrev_b32_e32 v30, 24, v4
	v_bfrev_b32_e32 v119, 1
	s_mov_b32 s19, exec_lo
	s_delay_alu instid0(VALU_DEP_2)
	v_cmpx_ne_u32_e32 0x80, v30
	s_cbranch_execz .LBB0_794
; %bb.787:                              ;   in Loop: Header=BB0_489 Depth=2
	v_and_b32_e32 v119, 0x7c000000, v4
	v_bfe_u32 v46, v4, 24, 2
	s_delay_alu instid0(VALU_DEP_2) | instskip(SKIP_1) | instid1(SALU_CYCLE_1)
	v_cmp_ne_u32_e32 vcc_lo, 0x7c000000, v119
                                        ; implicit-def: $vgpr119
	s_and_saveexec_b32 s20, vcc_lo
	s_xor_b32 s20, exec_lo, s20
	s_cbranch_execz .LBB0_791
; %bb.788:                              ;   in Loop: Header=BB0_489 Depth=2
	v_bfe_u32 v2, v4, 26, 5
	s_mov_b32 s21, exec_lo
	s_delay_alu instid0(VALU_DEP_1)
	v_cmpx_eq_u32_e32 0, v2
; %bb.789:                              ;   in Loop: Header=BB0_489 Depth=2
	v_clz_i32_u32_e32 v2, v46
	s_delay_alu instid0(VALU_DEP_1) | instskip(NEXT) | instid1(VALU_DEP_1)
	v_min_u32_e32 v2, 32, v2
	v_subrev_nc_u32_e32 v3, 29, v2
	v_sub_nc_u32_e32 v2, 30, v2
	s_delay_alu instid0(VALU_DEP_2) | instskip(NEXT) | instid1(VALU_DEP_1)
	v_lshlrev_b64_e32 v[46:47], v3, v[30:31]
	v_and_b32_e32 v46, 3, v46
; %bb.790:                              ;   in Loop: Header=BB0_489 Depth=2
	s_or_b32 exec_lo, exec_lo, s21
	v_and_b32_e32 v3, 0x80000000, v4
	s_delay_alu instid0(VALU_DEP_1) | instskip(NEXT) | instid1(VALU_DEP_1)
	v_lshl_add_u32 v2, v2, 23, v3
	v_lshl_or_b32 v2, v46, 21, v2
                                        ; implicit-def: $vgpr46
	s_delay_alu instid0(VALU_DEP_1)
	v_add_nc_u32_e32 v119, 0x38000000, v2
                                        ; implicit-def: $vgpr2_vgpr3
.LBB0_791:                              ;   in Loop: Header=BB0_489 Depth=2
	s_and_not1_saveexec_b32 s20, s20
; %bb.792:                              ;   in Loop: Header=BB0_489 Depth=2
	v_cmp_lt_i64_e32 vcc_lo, -1, v[2:3]
	v_cndmask_b32_e32 v2, 0xff800000, v21, vcc_lo
	v_cmp_eq_u32_e32 vcc_lo, 0, v46
	s_delay_alu instid0(VALU_DEP_2)
	v_cndmask_b32_e32 v119, 0x7f800001, v2, vcc_lo
; %bb.793:                              ;   in Loop: Header=BB0_489 Depth=2
	s_or_b32 exec_lo, exec_lo, s20
.LBB0_794:                              ;   in Loop: Header=BB0_489 Depth=2
	s_delay_alu instid0(SALU_CYCLE_1)
	s_or_b32 exec_lo, exec_lo, s19
.LBB0_795:                              ;   in Loop: Header=BB0_489 Depth=2
	s_delay_alu instid0(SALU_CYCLE_1) | instskip(NEXT) | instid1(SALU_CYCLE_1)
	s_or_b32 exec_lo, exec_lo, s7
	s_mov_b32 s7, exec_lo
	v_cmpx_lt_u32_e32 0xffffff, v54
	s_cbranch_execz .LBB0_805
; %bb.796:                              ;   in Loop: Header=BB0_489 Depth=2
	v_lshrrev_b32_e32 v2, 24, v54
	v_bfrev_b32_e32 v5, 1
	s_mov_b32 s19, exec_lo
	s_delay_alu instid0(VALU_DEP_2)
	v_cmpx_ne_u32_e32 0x80, v2
	s_cbranch_execz .LBB0_804
; %bb.797:                              ;   in Loop: Header=BB0_489 Depth=2
	v_and_b32_e32 v4, 0x7c000000, v54
	v_bfe_u32 v3, v54, 24, 2
	s_mov_b32 s20, exec_lo
                                        ; implicit-def: $vgpr5
	s_delay_alu instid0(VALU_DEP_2)
	v_cmpx_ne_u32_e32 0x7c000000, v4
	s_xor_b32 s20, exec_lo, s20
	s_cbranch_execz .LBB0_801
; %bb.798:                              ;   in Loop: Header=BB0_489 Depth=2
	v_bfe_u32 v4, v54, 26, 5
	s_mov_b32 s21, exec_lo
	s_delay_alu instid0(VALU_DEP_1)
	v_cmpx_eq_u32_e32 0, v4
; %bb.799:                              ;   in Loop: Header=BB0_489 Depth=2
	v_clz_i32_u32_e32 v3, v3
	s_delay_alu instid0(VALU_DEP_1) | instskip(NEXT) | instid1(VALU_DEP_1)
	v_min_u32_e32 v4, 32, v3
	v_subrev_nc_u32_e32 v3, 29, v4
	s_delay_alu instid0(VALU_DEP_1) | instskip(NEXT) | instid1(VALU_DEP_1)
	v_lshlrev_b64_e32 v[2:3], v3, v[2:3]
	v_dual_sub_nc_u32 v4, 30, v4 :: v_dual_bitop2_b32 v3, 3, v2 bitop3:0x40
; %bb.800:                              ;   in Loop: Header=BB0_489 Depth=2
	s_or_b32 exec_lo, exec_lo, s21
	v_and_b32_e32 v2, 0x80000000, v54
	s_delay_alu instid0(VALU_DEP_1) | instskip(NEXT) | instid1(VALU_DEP_1)
	v_lshl_add_u32 v2, v4, 23, v2
	v_lshl_or_b32 v2, v3, 21, v2
                                        ; implicit-def: $vgpr3
	s_delay_alu instid0(VALU_DEP_1)
	v_add_nc_u32_e32 v5, 0x38000000, v2
.LBB0_801:                              ;   in Loop: Header=BB0_489 Depth=2
	s_and_not1_saveexec_b32 s20, s20
; %bb.802:                              ;   in Loop: Header=BB0_489 Depth=2
	v_cmp_lt_i32_e32 vcc_lo, -1, v54
	v_cndmask_b32_e32 v2, 0xff800000, v21, vcc_lo
	v_cmp_eq_u32_e32 vcc_lo, 0, v3
	s_delay_alu instid0(VALU_DEP_2)
	v_cndmask_b32_e32 v5, 0x7f800001, v2, vcc_lo
; %bb.803:                              ;   in Loop: Header=BB0_489 Depth=2
	s_or_b32 exec_lo, exec_lo, s20
.LBB0_804:                              ;   in Loop: Header=BB0_489 Depth=2
	s_delay_alu instid0(SALU_CYCLE_1)
	s_or_b32 exec_lo, exec_lo, s19
.LBB0_805:                              ;   in Loop: Header=BB0_489 Depth=2
	s_delay_alu instid0(SALU_CYCLE_1) | instskip(NEXT) | instid1(VALU_DEP_1)
	s_or_b32 exec_lo, exec_lo, s7
	v_mul_f32_e32 v3, v119, v5
	v_mov_b32_e32 v5, v55
                                        ; implicit-def: $vgpr2
	s_delay_alu instid0(VALU_DEP_2) | instskip(SKIP_1) | instid1(VALU_DEP_2)
	v_and_b32_e32 v4, 0x7f800000, v3
	v_and_b32_e32 v54, 0x7fffff, v3
	v_cmp_ne_u64_e32 vcc_lo, 0x7f800000, v[4:5]
	v_lshrrev_b32_e32 v4, 24, v3
	s_and_saveexec_b32 s7, vcc_lo
	s_delay_alu instid0(SALU_CYCLE_1)
	s_xor_b32 s19, exec_lo, s7
	s_cbranch_execz .LBB0_819
; %bb.806:                              ;   in Loop: Header=BB0_489 Depth=2
	v_and_b32_e32 v46, 0x7fffffff, v3
	v_mov_b32_e32 v47, v55
	v_and_b32_e32 v30, 0x80, v4
                                        ; implicit-def: $vgpr2
	s_mov_b32 s7, exec_lo
	s_delay_alu instid0(VALU_DEP_2)
	v_cmpx_gt_u64_e32 0x47600001, v[46:47]
	s_xor_b32 s20, exec_lo, s7
	s_cbranch_execz .LBB0_816
; %bb.807:                              ;   in Loop: Header=BB0_489 Depth=2
	v_mov_b32_e32 v2, 0
	s_mov_b32 s21, exec_lo
	v_cmpx_ne_u32_e32 0, v3
	s_cbranch_execz .LBB0_815
; %bb.808:                              ;   in Loop: Header=BB0_489 Depth=2
	v_bfe_u32 v119, v3, 23, 8
	v_or_b32_e32 v4, 0x800000, v54
	s_delay_alu instid0(VALU_DEP_2) | instskip(SKIP_1) | instid1(VALU_DEP_2)
	v_sub_nc_u32_e32 v2, 0x71, v119
	v_cmp_gt_u32_e32 vcc_lo, 0x72, v119
	v_cndmask_b32_e32 v2, 0, v2, vcc_lo
	v_cmp_eq_u32_e32 vcc_lo, 0, v119
	s_delay_alu instid0(VALU_DEP_2) | instskip(SKIP_1) | instid1(VALU_DEP_2)
	v_cndmask_b32_e64 v46, v2, 0x70, vcc_lo
	v_cndmask_b32_e32 v54, v4, v54, vcc_lo
	v_dual_add_nc_u32 v2, 21, v46 :: v_dual_add_nc_u32 v5, 20, v46
	s_delay_alu instid0(VALU_DEP_1) | instskip(NEXT) | instid1(VALU_DEP_2)
	v_lshlrev_b64_e64 v[2:3], v2, -1
	v_lshlrev_b64_e64 v[4:5], v5, 1
	s_delay_alu instid0(VALU_DEP_2) | instskip(NEXT) | instid1(VALU_DEP_3)
	v_bfi_b32 v63, v3, 0, 0
	v_bfi_b32 v62, v2, 0, v54
	v_lshrrev_b64 v[2:3], v46, v[54:55]
	s_delay_alu instid0(VALU_DEP_2) | instskip(NEXT) | instid1(VALU_DEP_2)
	v_cmp_eq_u64_e64 s7, v[62:63], v[4:5]
	v_mov_b64_e32 v[4:5], v[2:3]
	s_and_saveexec_b32 s22, s7
; %bb.809:                              ;   in Loop: Header=BB0_489 Depth=2
	v_bfe_u32 v54, v2, 21, 1
	s_delay_alu instid0(VALU_DEP_1) | instskip(NEXT) | instid1(VALU_DEP_1)
	v_add_nc_u64_e32 v[4:5], v[2:3], v[54:55]
	v_add_nc_u64_e32 v[4:5], -1, v[4:5]
; %bb.810:                              ;   in Loop: Header=BB0_489 Depth=2
	s_or_b32 exec_lo, exec_lo, s22
	v_add_nc_u32_e32 v3, 0xffffff81, v119
	v_lshrrev_b32_e32 v5, 23, v2
	s_mov_b32 s7, exec_lo
	s_delay_alu instid0(VALU_DEP_2) | instskip(NEXT) | instid1(VALU_DEP_1)
	v_cndmask_b32_e64 v3, v3, 0xffffff82, vcc_lo
	v_add3_u32 v5, v46, v3, v5
	v_and_b32_e32 v3, 0x1fffff, v4
                                        ; implicit-def: $vgpr4
	s_delay_alu instid0(VALU_DEP_1) | instskip(NEXT) | instid1(VALU_DEP_1)
	v_dual_add_nc_u32 v119, 14, v5 :: v_dual_add_nc_u32 v54, v3, v2
                                        ; implicit-def: $vgpr2_vgpr3
	v_cmpx_ne_u32_e32 0, v119
	s_xor_b32 s7, exec_lo, s7
; %bb.811:                              ;   in Loop: Header=BB0_489 Depth=2
	s_delay_alu instid0(VALU_DEP_2) | instskip(SKIP_1) | instid1(VALU_DEP_1)
	v_cmp_lt_u64_e32 vcc_lo, 0xffffff, v[54:55]
	v_add_nc_u32_e32 v2, 15, v5
	v_cndmask_b32_e32 v4, v119, v2, vcc_lo
	v_cndmask_b32_e64 v2, 0, 1, vcc_lo
	s_delay_alu instid0(VALU_DEP_1)
	v_lshrrev_b64 v[2:3], v2, v[54:55]
; %bb.812:                              ;   in Loop: Header=BB0_489 Depth=2
	s_and_not1_saveexec_b32 s7, s7
; %bb.813:                              ;   in Loop: Header=BB0_489 Depth=2
	v_mov_b64_e32 v[2:3], v[54:55]
	v_bfe_u32 v4, v54, 23, 1
; %bb.814:                              ;   in Loop: Header=BB0_489 Depth=2
	s_or_b32 exec_lo, exec_lo, s7
	s_delay_alu instid0(VALU_DEP_2) | instskip(NEXT) | instid1(VALU_DEP_2)
	v_lshrrev_b64 v[2:3], 21, v[2:3]
	v_cmp_gt_i32_e32 vcc_lo, 32, v4
	v_min_i32_e32 v5, 31, v4
	v_cmp_eq_u32_e64 s7, 0, v4
	s_delay_alu instid0(VALU_DEP_2) | instskip(SKIP_1) | instid1(VALU_DEP_2)
	v_dual_cndmask_b32 v3, 0, v3, vcc_lo :: v_dual_lshlrev_b32 v5, 2, v5
	v_cndmask_b32_e32 v2, 3, v2, vcc_lo
	v_and_b32_e32 v5, 0xfc, v5
	s_delay_alu instid0(VALU_DEP_2) | instskip(NEXT) | instid1(VALU_DEP_2)
	v_cmp_eq_u64_e32 vcc_lo, 0, v[2:3]
	v_and_or_b32 v2, v2, 3, v5
	s_and_b32 s7, s7, vcc_lo
	s_delay_alu instid0(VALU_DEP_1) | instid1(SALU_CYCLE_1)
	v_cndmask_b32_e64 v2, v2, 0, s7
	s_delay_alu instid0(VALU_DEP_1)
	v_or_b32_e32 v2, v2, v30
.LBB0_815:                              ;   in Loop: Header=BB0_489 Depth=2
	s_or_b32 exec_lo, exec_lo, s21
                                        ; implicit-def: $vgpr30
.LBB0_816:                              ;   in Loop: Header=BB0_489 Depth=2
	s_and_not1_saveexec_b32 s7, s20
; %bb.817:                              ;   in Loop: Header=BB0_489 Depth=2
	v_or_b32_e32 v2, 0x7b, v30
; %bb.818:                              ;   in Loop: Header=BB0_489 Depth=2
	s_or_b32 exec_lo, exec_lo, s7
                                        ; implicit-def: $vgpr3
                                        ; implicit-def: $vgpr4
.LBB0_819:                              ;   in Loop: Header=BB0_489 Depth=2
	s_and_not1_saveexec_b32 s7, s19
	s_cbranch_execz .LBB0_825
; %bb.820:                              ;   in Loop: Header=BB0_489 Depth=2
	s_mov_b32 s19, exec_lo
                                        ; implicit-def: $vgpr2
	v_cmpx_ne_u64_e32 0, v[54:55]
	s_xor_b32 s19, exec_lo, s19
; %bb.821:                              ;   in Loop: Header=BB0_489 Depth=2
	v_or_b32_e32 v2, 0x7f, v4
                                        ; implicit-def: $vgpr3
; %bb.822:                              ;   in Loop: Header=BB0_489 Depth=2
	s_and_not1_saveexec_b32 s19, s19
; %bb.823:                              ;   in Loop: Header=BB0_489 Depth=2
	v_cmp_lt_i32_e32 vcc_lo, -1, v3
	v_cndmask_b32_e32 v2, 0xfc, v58, vcc_lo
; %bb.824:                              ;   in Loop: Header=BB0_489 Depth=2
	s_or_b32 exec_lo, exec_lo, s19
.LBB0_825:                              ;   in Loop: Header=BB0_489 Depth=2
	s_delay_alu instid0(SALU_CYCLE_1) | instskip(SKIP_1) | instid1(VALU_DEP_2)
	s_or_b32 exec_lo, exec_lo, s7
	v_dual_lshlrev_b32 v3, 16, v40 :: v_dual_lshlrev_b32 v4, 16, v118
	v_dual_lshlrev_b32 v5, 24, v41 :: v_dual_lshlrev_b32 v30, 24, v2
	v_cmp_lt_u32_e32 vcc_lo, 7, v60
	s_delay_alu instid0(VALU_DEP_3) | instskip(NEXT) | instid1(VALU_DEP_4)
	v_lshl_or_b32 v2, v43, 8, v3
	v_lshl_or_b32 v3, v45, 8, v4
	s_mov_b32 s7, -1
	s_cmp_lg_u32 vcc_lo, exec_lo
	s_delay_alu instid0(VALU_DEP_2) | instskip(NEXT) | instid1(VALU_DEP_2)
	v_or3_b32 v2, v2, v5, v117
	v_or3_b32 v3, v3, v30, v44
	s_cbranch_scc0 .LBB0_841
; %bb.826:                              ;   in Loop: Header=BB0_489 Depth=2
	s_mov_b32 s19, exec_lo
	flat_store_b8 v[18:19], v117
	s_wait_xcnt 0x0
	v_cmpx_ne_u32_e32 1, v60
	s_cbranch_execz .LBB0_828
; %bb.827:                              ;   in Loop: Header=BB0_489 Depth=2
	v_lshrrev_b32_e32 v4, 8, v2
	flat_store_b8 v[18:19], v4 offset:1
.LBB0_828:                              ;   in Loop: Header=BB0_489 Depth=2
	s_wait_xcnt 0x0
	s_or_b32 exec_lo, exec_lo, s19
	s_delay_alu instid0(SALU_CYCLE_1)
	s_mov_b32 s19, exec_lo
	v_cmpx_lt_u32_e32 2, v60
	s_cbranch_execz .LBB0_830
; %bb.829:                              ;   in Loop: Header=BB0_489 Depth=2
	flat_store_d16_hi_b8 v[18:19], v2 offset:2
.LBB0_830:                              ;   in Loop: Header=BB0_489 Depth=2
	s_wait_xcnt 0x0
	s_or_b32 exec_lo, exec_lo, s19
	s_delay_alu instid0(SALU_CYCLE_1)
	s_mov_b32 s19, exec_lo
	v_cmpx_lt_u32_e32 3, v60
	s_cbranch_execz .LBB0_832
; %bb.831:                              ;   in Loop: Header=BB0_489 Depth=2
	v_lshrrev_b32_e32 v4, 24, v2
	flat_store_b8 v[18:19], v4 offset:3
.LBB0_832:                              ;   in Loop: Header=BB0_489 Depth=2
	s_wait_xcnt 0x0
	s_or_b32 exec_lo, exec_lo, s19
	s_delay_alu instid0(SALU_CYCLE_1)
	s_mov_b32 s19, exec_lo
	v_cmpx_lt_u32_e32 4, v60
	s_cbranch_execz .LBB0_834
; %bb.833:                              ;   in Loop: Header=BB0_489 Depth=2
	flat_store_b8 v[18:19], v44 offset:4
.LBB0_834:                              ;   in Loop: Header=BB0_489 Depth=2
	s_wait_xcnt 0x0
	s_or_b32 exec_lo, exec_lo, s19
	s_delay_alu instid0(SALU_CYCLE_1)
	s_mov_b32 s19, exec_lo
	v_cmpx_lt_u32_e32 5, v60
	s_cbranch_execz .LBB0_836
; %bb.835:                              ;   in Loop: Header=BB0_489 Depth=2
	v_lshrrev_b32_e32 v4, 8, v3
	flat_store_b8 v[18:19], v4 offset:5
.LBB0_836:                              ;   in Loop: Header=BB0_489 Depth=2
	s_wait_xcnt 0x0
	s_or_b32 exec_lo, exec_lo, s19
	s_delay_alu instid0(SALU_CYCLE_1)
	s_mov_b32 s19, exec_lo
	v_cmpx_lt_u32_e32 6, v60
	s_cbranch_execz .LBB0_838
; %bb.837:                              ;   in Loop: Header=BB0_489 Depth=2
	flat_store_d16_hi_b8 v[18:19], v3 offset:6
.LBB0_838:                              ;   in Loop: Header=BB0_489 Depth=2
	s_wait_xcnt 0x0
	s_or_b32 exec_lo, exec_lo, s19
	s_and_saveexec_b32 s7, vcc_lo
	s_cbranch_execz .LBB0_840
; %bb.839:                              ;   in Loop: Header=BB0_489 Depth=2
	v_lshrrev_b32_e32 v4, 24, v3
	flat_store_b8 v[18:19], v4 offset:7
.LBB0_840:                              ;   in Loop: Header=BB0_489 Depth=2
	s_wait_xcnt 0x0
	s_or_b32 exec_lo, exec_lo, s7
	s_mov_b32 s7, 0
.LBB0_841:                              ;   in Loop: Header=BB0_489 Depth=2
	s_delay_alu instid0(SALU_CYCLE_1)
	s_and_b32 vcc_lo, exec_lo, s7
	s_cbranch_vccz .LBB0_488
; %bb.842:                              ;   in Loop: Header=BB0_489 Depth=2
	global_store_b64 v[18:19], v[2:3], off
	s_branch .LBB0_488
.LBB0_843:                              ;   in Loop: Header=BB0_36 Depth=1
	s_or_b32 exec_lo, exec_lo, s18
	s_delay_alu instid0(SALU_CYCLE_1)
	s_or_b32 exec_lo, exec_lo, s8
	s_and_saveexec_b32 s7, s3
	s_cbranch_execz .LBB0_486
.LBB0_844:                              ;   in Loop: Header=BB0_36 Depth=1
	s_and_saveexec_b32 s8, s4
	s_delay_alu instid0(SALU_CYCLE_1)
	s_xor_b32 s8, exec_lo, s8
	s_cbranch_execz .LBB0_859
; %bb.845:                              ;   in Loop: Header=BB0_36 Depth=1
	s_and_saveexec_b32 s18, s5
	s_cbranch_execz .LBB0_858
; %bb.846:                              ;   in Loop: Header=BB0_36 Depth=1
	s_mov_b32 s20, exec_lo
	s_mov_b32 s19, exec_lo
	v_mbcnt_lo_u32_b32 v2, s20, 0
	global_wb scope:SCOPE_DEV
	s_wait_storecnt 0x0
	s_wait_loadcnt_dscnt 0x0
	global_inv scope:SCOPE_DEV
	v_cmpx_eq_u32_e32 0, v2
	s_cbranch_execz .LBB0_848
; %bb.847:                              ;   in Loop: Header=BB0_36 Depth=1
	s_bcnt1_i32_b32 s20, s20
	s_delay_alu instid0(SALU_CYCLE_1)
	v_mov_b32_e32 v54, s20
	s_wait_loadcnt 0x0
	ds_add_u64 v0, v[54:55]
	s_trap 2
.LBB0_848:                              ;   in Loop: Header=BB0_36 Depth=1
	s_or_b32 exec_lo, exec_lo, s19
	s_trap 2
	ds_load_b64 v[2:3], v0
	s_wait_dscnt 0x0
	v_add_nc_u64_e32 v[52:53], v[52:53], v[84:85]
	s_mov_b32 s19, exec_lo
	s_delay_alu instid0(VALU_DEP_1)
	v_cmpx_lt_u64_e64 v[2:3], v[52:53]
	s_cbranch_execz .LBB0_857
; %bb.849:                              ;   in Loop: Header=BB0_36 Depth=1
	s_mov_b32 s20, 0
	s_mov_b32 s23, 0
                                        ; implicit-def: $sgpr21
                                        ; implicit-def: $sgpr22
	s_branch .LBB0_851
.LBB0_850:                              ;   in Loop: Header=BB0_851 Depth=2
	s_or_b32 exec_lo, exec_lo, s25
	s_delay_alu instid0(SALU_CYCLE_1) | instskip(NEXT) | instid1(SALU_CYCLE_1)
	s_and_b32 s24, exec_lo, s26
	s_or_b32 s20, s24, s20
	s_and_not1_b32 s21, s21, exec_lo
	s_and_b32 s24, s22, exec_lo
	s_delay_alu instid0(SALU_CYCLE_1)
	s_or_b32 s21, s21, s24
	s_and_not1_b32 exec_lo, exec_lo, s20
	s_cbranch_execz .LBB0_855
.LBB0_851:                              ;   Parent Loop BB0_36 Depth=1
                                        ; =>  This Inner Loop Header: Depth=2
	s_add_co_i32 s23, s23, 1
	s_delay_alu instid0(SALU_CYCLE_1) | instskip(SKIP_1) | instid1(SALU_CYCLE_1)
	s_cmp_lg_u32 s23, 0x2710
	s_cselect_b32 s24, -1, 0
	s_and_b32 vcc_lo, exec_lo, s24
	s_cbranch_vccz .LBB0_853
; %bb.852:                              ;   in Loop: Header=BB0_851 Depth=2
	s_mov_b32 s26, -1
	s_or_b32 s22, s22, exec_lo
	s_and_saveexec_b32 s25, s24
	s_cbranch_execz .LBB0_850
	s_branch .LBB0_854
.LBB0_853:                              ;   in Loop: Header=BB0_851 Depth=2
	s_trap 2
	ds_load_b64 v[2:3], v0
	s_and_not1_b32 s24, s24, exec_lo
	s_mov_b32 s23, 0
	s_wait_loadcnt_dscnt 0x0
	flat_load_b32 v2, v[2:3] scope:SCOPE_SYS
	s_wait_loadcnt_dscnt 0x0
	global_inv scope:SCOPE_SYS
	v_cmp_eq_u32_e32 vcc_lo, 0, v2
	s_and_b32 s25, vcc_lo, exec_lo
	s_delay_alu instid0(SALU_CYCLE_1)
	s_or_b32 s24, s24, s25
	s_mov_b32 s26, -1
	s_or_b32 s22, s22, exec_lo
	s_and_saveexec_b32 s25, s24
	s_cbranch_execz .LBB0_850
.LBB0_854:                              ;   in Loop: Header=BB0_851 Depth=2
	s_sleep 1
	s_trap 2
	ds_load_b64 v[2:3], v0
	s_wait_dscnt 0x0
	s_and_not1_b32 s22, s22, exec_lo
	v_cmp_ge_u64_e32 vcc_lo, v[2:3], v[52:53]
	s_or_not1_b32 s26, vcc_lo, exec_lo
	s_branch .LBB0_850
.LBB0_855:                              ;   in Loop: Header=BB0_36 Depth=1
	s_or_b32 exec_lo, exec_lo, s20
	s_and_saveexec_b32 s20, s21
	s_delay_alu instid0(SALU_CYCLE_1)
	s_xor_b32 s20, exec_lo, s20
	s_cbranch_execz .LBB0_857
; %bb.856:                              ;   in Loop: Header=BB0_36 Depth=1
	ds_store_b32 v0, v1
	s_trap 2
.LBB0_857:                              ;   in Loop: Header=BB0_36 Depth=1
	s_or_b32 exec_lo, exec_lo, s19
	;;#ASMSTART
	s_wakeup
	;;#ASMEND
.LBB0_858:                              ;   in Loop: Header=BB0_36 Depth=1
	s_or_b32 exec_lo, exec_lo, s18
.LBB0_859:                              ;   in Loop: Header=BB0_36 Depth=1
	s_and_not1_saveexec_b32 s8, s8
	s_cbranch_execz .LBB0_861
; %bb.860:                              ;   in Loop: Header=BB0_36 Depth=1
	global_wb scope:SCOPE_DEV
	s_wait_storecnt 0x0
	s_wait_loadcnt_dscnt 0x0
	global_inv scope:SCOPE_DEV
	s_barrier_signal -1
	s_barrier_wait -1
.LBB0_861:                              ;   in Loop: Header=BB0_36 Depth=1
	s_or_b32 exec_lo, exec_lo, s8
	s_delay_alu instid0(SALU_CYCLE_1)
	s_or_b32 exec_lo, exec_lo, s7
	s_and_saveexec_b32 s7, s6
	s_cbranch_execz .LBB0_35
.LBB0_862:                              ;   in Loop: Header=BB0_36 Depth=1
	v_add_nc_u64_e32 v[38:39], 1, v[38:39]
	global_wb scope:SCOPE_SYS
	s_wait_storecnt 0x0
	s_wait_loadcnt_dscnt 0x0
	flat_store_b64 v[48:49], v[38:39] scope:SCOPE_SYS
	s_branch .LBB0_35
.LBB0_863:
	s_or_b32 exec_lo, exec_lo, s16
	s_delay_alu instid0(SALU_CYCLE_1)
	s_or_b32 exec_lo, exec_lo, s14
	s_and_saveexec_b32 s1, s9
	s_cbranch_execz .LBB0_20
.LBB0_864:
	s_wait_dscnt 0x0
	flat_store_b64 v[28:29], v[38:39] offset:104
	s_wait_xcnt 0x0
	s_or_b32 exec_lo, exec_lo, s1
	s_and_saveexec_b32 s1, s0
	s_cbranch_execnz .LBB0_21
	s_branch .LBB0_22
.LBB0_865:
	s_or_b32 exec_lo, exec_lo, s4
	s_and_saveexec_b32 s4, s5
	s_delay_alu instid0(SALU_CYCLE_1)
	s_xor_b32 s4, exec_lo, s4
	s_cbranch_execz .LBB0_867
; %bb.866:
	v_mov_b32_e32 v0, 1
	ds_store_b32 v0, v0
	s_trap 2
.LBB0_867:
	s_or_b32 exec_lo, exec_lo, s3
	;;#ASMSTART
	s_wakeup
	;;#ASMEND
.LBB0_868:
	s_or_b32 exec_lo, exec_lo, s2
.LBB0_869:
	s_and_not1_saveexec_b32 s1, s1
	s_cbranch_execz .LBB0_871
; %bb.870:
	global_wb scope:SCOPE_DEV
	s_wait_storecnt 0x0
	s_wait_loadcnt_dscnt 0x0
	global_inv scope:SCOPE_DEV
	s_barrier_signal -1
	s_barrier_wait -1
.LBB0_871:
	s_or_b32 exec_lo, exec_lo, s0
	s_clause 0x17
	scratch_load_b32 v79, off, s32
	scratch_load_b32 v78, off, s32 offset:4
	scratch_load_b32 v77, off, s32 offset:8
	;; [unrolled: 1-line block ×23, first 2 shown]
	s_wait_loadcnt_dscnt 0x0
	s_set_pc_i64 s[30:31]
.Lfunc_end0:
	.size	_ZN12_GLOBAL__N_17runRingI14__hip_fp8_e5m28FuncProdIS1_E7ProtoLLLi0ELi1ELi0EEEviiP15ncclDevWorkColl, .Lfunc_end0-_ZN12_GLOBAL__N_17runRingI14__hip_fp8_e5m28FuncProdIS1_E7ProtoLLLi0ELi1ELi0EEEviiP15ncclDevWorkColl
                                        ; -- End function
	.set .L_ZN12_GLOBAL__N_17runRingI14__hip_fp8_e5m28FuncProdIS1_E7ProtoLLLi0ELi1ELi0EEEviiP15ncclDevWorkColl.num_vgpr, 120
	.set .L_ZN12_GLOBAL__N_17runRingI14__hip_fp8_e5m28FuncProdIS1_E7ProtoLLLi0ELi1ELi0EEEviiP15ncclDevWorkColl.num_agpr, 0
	.set .L_ZN12_GLOBAL__N_17runRingI14__hip_fp8_e5m28FuncProdIS1_E7ProtoLLLi0ELi1ELi0EEEviiP15ncclDevWorkColl.numbered_sgpr, 41
	.set .L_ZN12_GLOBAL__N_17runRingI14__hip_fp8_e5m28FuncProdIS1_E7ProtoLLLi0ELi1ELi0EEEviiP15ncclDevWorkColl.num_named_barrier, 0
	.set .L_ZN12_GLOBAL__N_17runRingI14__hip_fp8_e5m28FuncProdIS1_E7ProtoLLLi0ELi1ELi0EEEviiP15ncclDevWorkColl.private_seg_size, 100
	.set .L_ZN12_GLOBAL__N_17runRingI14__hip_fp8_e5m28FuncProdIS1_E7ProtoLLLi0ELi1ELi0EEEviiP15ncclDevWorkColl.uses_vcc, 1
	.set .L_ZN12_GLOBAL__N_17runRingI14__hip_fp8_e5m28FuncProdIS1_E7ProtoLLLi0ELi1ELi0EEEviiP15ncclDevWorkColl.uses_flat_scratch, 1
	.set .L_ZN12_GLOBAL__N_17runRingI14__hip_fp8_e5m28FuncProdIS1_E7ProtoLLLi0ELi1ELi0EEEviiP15ncclDevWorkColl.has_dyn_sized_stack, 0
	.set .L_ZN12_GLOBAL__N_17runRingI14__hip_fp8_e5m28FuncProdIS1_E7ProtoLLLi0ELi1ELi0EEEviiP15ncclDevWorkColl.has_recursion, 0
	.set .L_ZN12_GLOBAL__N_17runRingI14__hip_fp8_e5m28FuncProdIS1_E7ProtoLLLi0ELi1ELi0EEEviiP15ncclDevWorkColl.has_indirect_call, 0
	.section	.AMDGPU.csdata,"",@progbits
; Function info:
; codeLenInByte = 25892
; TotalNumSgprs: 43
; NumVgprs: 120
; ScratchSize: 100
; MemoryBound: 0
	.text
	.p2align	2                               ; -- Begin function _Z51ncclDevFunc_ReduceScatter_RING_LL_Prod_f8e5m2_0_0_1v
	.type	_Z51ncclDevFunc_ReduceScatter_RING_LL_Prod_f8e5m2_0_0_1v,@function
_Z51ncclDevFunc_ReduceScatter_RING_LL_Prod_f8e5m2_0_0_1v: ; @_Z51ncclDevFunc_ReduceScatter_RING_LL_Prod_f8e5m2_0_0_1v
; %bb.0:
	s_wait_loadcnt_dscnt 0x0
	s_wait_kmcnt 0x0
	s_mov_b32 s56, s33
	s_mov_b32 s33, s32
	s_or_saveexec_b32 s0, -1
	scratch_store_b32 off, v41, s33 offset:4 ; 4-byte Folded Spill
	s_wait_xcnt 0x0
	s_mov_b32 exec_lo, s0
	s_add_co_i32 s32, s32, 16
	scratch_store_b32 off, v40, s33         ; 4-byte Folded Spill
	v_writelane_b32 v41, s30, 0
	v_writelane_b32 v41, s31, 1
	s_trap 2
	ds_load_b32 v0, v0
	s_wait_dscnt 0x0
	v_cmp_gt_i32_e32 vcc_lo, 1, v0
	s_cbranch_vccnz .LBB1_8
; %bb.1:
	s_wait_xcnt 0x0
	v_and_b32_e32 v40, 0x3ff, v31
	s_mov_b32 s41, s12
	s_mov_b64 s[42:43], s[8:9]
	s_mov_b32 s46, 0
	s_get_pc_i64 s[44:45]
	s_add_nc_u64 s[44:45], s[44:45], _ZN12_GLOBAL__N_17runRingI14__hip_fp8_e5m28FuncProdIS1_E7ProtoLLLi0ELi1ELi0EEEviiP15ncclDevWorkColl@rel64+4
	s_branch .LBB1_3
.LBB1_2:                                ;   in Loop: Header=BB1_3 Depth=1
	s_or_b32 exec_lo, exec_lo, s47
	s_trap 2
	ds_load_b32 v0, v0
	s_add_co_i32 s46, s46, 1
	s_wait_dscnt 0x0
	v_cmp_lt_i32_e32 vcc_lo, s46, v0
	s_cbranch_vccz .LBB1_8
.LBB1_3:                                ; =>This Inner Loop Header: Depth=1
	s_trap 2
	ds_load_b32 v0, v0
	s_cmp_eq_u32 s46, 0
	s_cbranch_scc1 .LBB1_6
; %bb.4:                                ;   in Loop: Header=BB1_3 Depth=1
	s_trap 2
	s_wait_dscnt 0x0
	ds_load_b32 v1, v0
	s_wait_dscnt 0x0
	v_xor_b32_e32 v1, v1, v0
	s_delay_alu instid0(VALU_DEP_1) | instskip(NEXT) | instid1(VALU_DEP_1)
	v_and_b32_e32 v1, 0xff0000, v1
	v_cmp_eq_u32_e32 vcc_lo, 0, v1
	s_cbranch_vccnz .LBB1_6
; %bb.5:                                ;   in Loop: Header=BB1_3 Depth=1
	s_wait_storecnt 0x0
	s_barrier_signal -1
	s_barrier_wait -1
	ds_load_b32 v0, v0
.LBB1_6:                                ;   in Loop: Header=BB1_3 Depth=1
	s_wait_dscnt 0x0
	v_lshrrev_b32_e32 v0, 11, v0
	s_mov_b32 s47, exec_lo
	s_delay_alu instid0(VALU_DEP_1) | instskip(NEXT) | instid1(VALU_DEP_1)
	v_and_b32_e32 v1, 0x1fe0, v0
	v_cmpx_lt_u32_e64 v40, v1
	s_cbranch_execz .LBB1_2
; %bb.7:                                ;   in Loop: Header=BB1_3 Depth=1
	s_mov_b64 s[0:1], src_shared_base
	s_delay_alu instid0(SALU_CYCLE_1)
	v_dual_mov_b32 v0, v40 :: v_dual_mov_b32 v3, s1
	s_mov_b64 s[8:9], s[42:43]
	s_mov_b32 s12, s41
	s_swap_pc_i64 s[30:31], s[44:45]
	s_branch .LBB1_2
.LBB1_8:
	scratch_load_b32 v40, off, s33          ; 4-byte Folded Reload
	v_readlane_b32 s30, v41, 0
	v_readlane_b32 s31, v41, 1
	s_mov_b32 s32, s33
	s_wait_xcnt 0x0
	s_or_saveexec_b32 s0, -1
	scratch_load_b32 v41, off, s33 offset:4 ; 4-byte Folded Reload
	s_wait_xcnt 0x0
	s_mov_b32 exec_lo, s0
	s_mov_b32 s33, s56
	s_wait_loadcnt 0x0
	s_set_pc_i64 s[30:31]
.Lfunc_end1:
	.size	_Z51ncclDevFunc_ReduceScatter_RING_LL_Prod_f8e5m2_0_0_1v, .Lfunc_end1-_Z51ncclDevFunc_ReduceScatter_RING_LL_Prod_f8e5m2_0_0_1v
                                        ; -- End function
	.set .L_Z51ncclDevFunc_ReduceScatter_RING_LL_Prod_f8e5m2_0_0_1v.num_vgpr, max(42, .L_ZN12_GLOBAL__N_17runRingI14__hip_fp8_e5m28FuncProdIS1_E7ProtoLLLi0ELi1ELi0EEEviiP15ncclDevWorkColl.num_vgpr)
	.set .L_Z51ncclDevFunc_ReduceScatter_RING_LL_Prod_f8e5m2_0_0_1v.num_agpr, max(0, .L_ZN12_GLOBAL__N_17runRingI14__hip_fp8_e5m28FuncProdIS1_E7ProtoLLLi0ELi1ELi0EEEviiP15ncclDevWorkColl.num_agpr)
	.set .L_Z51ncclDevFunc_ReduceScatter_RING_LL_Prod_f8e5m2_0_0_1v.numbered_sgpr, max(57, .L_ZN12_GLOBAL__N_17runRingI14__hip_fp8_e5m28FuncProdIS1_E7ProtoLLLi0ELi1ELi0EEEviiP15ncclDevWorkColl.numbered_sgpr)
	.set .L_Z51ncclDevFunc_ReduceScatter_RING_LL_Prod_f8e5m2_0_0_1v.num_named_barrier, max(0, .L_ZN12_GLOBAL__N_17runRingI14__hip_fp8_e5m28FuncProdIS1_E7ProtoLLLi0ELi1ELi0EEEviiP15ncclDevWorkColl.num_named_barrier)
	.set .L_Z51ncclDevFunc_ReduceScatter_RING_LL_Prod_f8e5m2_0_0_1v.private_seg_size, 16+max(.L_ZN12_GLOBAL__N_17runRingI14__hip_fp8_e5m28FuncProdIS1_E7ProtoLLLi0ELi1ELi0EEEviiP15ncclDevWorkColl.private_seg_size)
	.set .L_Z51ncclDevFunc_ReduceScatter_RING_LL_Prod_f8e5m2_0_0_1v.uses_vcc, or(1, .L_ZN12_GLOBAL__N_17runRingI14__hip_fp8_e5m28FuncProdIS1_E7ProtoLLLi0ELi1ELi0EEEviiP15ncclDevWorkColl.uses_vcc)
	.set .L_Z51ncclDevFunc_ReduceScatter_RING_LL_Prod_f8e5m2_0_0_1v.uses_flat_scratch, or(0, .L_ZN12_GLOBAL__N_17runRingI14__hip_fp8_e5m28FuncProdIS1_E7ProtoLLLi0ELi1ELi0EEEviiP15ncclDevWorkColl.uses_flat_scratch)
	.set .L_Z51ncclDevFunc_ReduceScatter_RING_LL_Prod_f8e5m2_0_0_1v.has_dyn_sized_stack, or(0, .L_ZN12_GLOBAL__N_17runRingI14__hip_fp8_e5m28FuncProdIS1_E7ProtoLLLi0ELi1ELi0EEEviiP15ncclDevWorkColl.has_dyn_sized_stack)
	.set .L_Z51ncclDevFunc_ReduceScatter_RING_LL_Prod_f8e5m2_0_0_1v.has_recursion, or(1, .L_ZN12_GLOBAL__N_17runRingI14__hip_fp8_e5m28FuncProdIS1_E7ProtoLLLi0ELi1ELi0EEEviiP15ncclDevWorkColl.has_recursion)
	.set .L_Z51ncclDevFunc_ReduceScatter_RING_LL_Prod_f8e5m2_0_0_1v.has_indirect_call, or(0, .L_ZN12_GLOBAL__N_17runRingI14__hip_fp8_e5m28FuncProdIS1_E7ProtoLLLi0ELi1ELi0EEEviiP15ncclDevWorkColl.has_indirect_call)
	.section	.AMDGPU.csdata,"",@progbits
; Function info:
; codeLenInByte = 396
; TotalNumSgprs: 59
; NumVgprs: 120
; ScratchSize: 116
; MemoryBound: 0
	.text
	.p2align	2                               ; -- Begin function _ZN12_GLOBAL__N_17runRingI14__hip_fp8_e5m28FuncProdIS1_E7ProtoLLLi0ELi2ELi0EEEviiP15ncclDevWorkColl
	.type	_ZN12_GLOBAL__N_17runRingI14__hip_fp8_e5m28FuncProdIS1_E7ProtoLLLi0ELi2ELi0EEEviiP15ncclDevWorkColl,@function
_ZN12_GLOBAL__N_17runRingI14__hip_fp8_e5m28FuncProdIS1_E7ProtoLLLi0ELi2ELi0EEEviiP15ncclDevWorkColl: ; @_ZN12_GLOBAL__N_17runRingI14__hip_fp8_e5m28FuncProdIS1_E7ProtoLLLi0ELi2ELi0EEEviiP15ncclDevWorkColl
; %bb.0:
	s_wait_loadcnt_dscnt 0x0
	s_wait_kmcnt 0x0
	s_clause 0x17
	scratch_store_b32 off, v40, s32 offset:92
	; meta instruction
	scratch_store_b32 off, v41, s32 offset:88
	; meta instruction
	;; [unrolled: 2-line block ×23, first 2 shown]
	scratch_store_b32 off, v79, s32
	s_trap 2
	s_clause 0x2
	flat_load_b32 v12, v[2:3]
	flat_load_b128 v[4:7], v[2:3] offset:72
	flat_load_b64 v[68:69], v[2:3] offset:88
	v_mov_b32_e32 v20, v1
	ds_load_b32 v8, v0
	ds_load_b64 v[22:23], v0
	s_mov_b32 s0, exec_lo
                                        ; implicit-def: $vgpr54_vgpr55
                                        ; implicit-def: $vgpr24_vgpr25
	s_wait_dscnt 0x1
	v_readfirstlane_b32 s10, v8
	s_wait_loadcnt 0x2
	v_bfe_u32 v9, v12, 8, 8
	v_bitop3_b32 v1, v12, 0xff, v12 bitop3:0x3f
	s_delay_alu instid0(VALU_DEP_1) | instskip(NEXT) | instid1(VALU_DEP_1)
	v_add_nc_u32_e32 v10, v9, v1
	v_ashrrev_i32_e32 v11, 31, v10
	s_wait_loadcnt 0x1
	s_delay_alu instid0(VALU_DEP_1) | instskip(SKIP_2) | instid1(VALU_DEP_1)
	v_mul_u64_e32 v[18:19], v[6:7], v[10:11]
	v_and_b32_e32 v10, 0xff, v12
	s_wait_xcnt 0x0
	v_cmpx_ne_u32_e64 v8, v10
	s_xor_b32 s0, exec_lo, s0
	s_cbranch_execz .LBB2_6
; %bb.1:
	s_mov_b32 s1, exec_lo
                                        ; implicit-def: $vgpr54_vgpr55
                                        ; implicit-def: $vgpr24_vgpr25
	v_cmpx_ne_u32_e64 v8, v9
	s_xor_b32 s1, exec_lo, s1
	s_cbranch_execz .LBB2_3
; %bb.2:
	flat_load_b64 v[10:11], v[2:3] offset:96
	v_add_nc_u32_e32 v1, v8, v1
	s_delay_alu instid0(VALU_DEP_1) | instskip(NEXT) | instid1(VALU_DEP_1)
	v_mad_nc_u64_u32 v[24:25], v6, v1, v[4:5]
	v_mad_u32 v8, v7, v1, v25
	v_ashrrev_i32_e32 v1, 31, v1
	s_delay_alu instid0(VALU_DEP_1)
	v_mad_u32 v25, v6, v1, v8
	s_wait_loadcnt_dscnt 0x0
	v_lshrrev_b64 v[54:55], 17, v[10:11]
.LBB2_3:
	s_wait_xcnt 0x0
	s_and_not1_saveexec_b32 s1, s1
	s_cbranch_execz .LBB2_5
; %bb.4:
	flat_load_b32 v1, v[2:3] offset:100
	v_add_nc_u64_e32 v[24:25], v[18:19], v[4:5]
	s_wait_loadcnt 0x1
	v_mov_b64_e32 v[6:7], v[68:69]
	s_wait_loadcnt_dscnt 0x0
	v_lshrrev_b32_e32 v54, 6, v1
.LBB2_5:
	s_wait_xcnt 0x0
	s_or_b32 exec_lo, exec_lo, s1
.LBB2_6:
	s_and_not1_saveexec_b32 s0, s0
	s_cbranch_execz .LBB2_8
; %bb.7:
	flat_load_b64 v[6:7], v[2:3] offset:96
	v_mov_b64_e32 v[24:25], 0
	s_wait_loadcnt_dscnt 0x0
	v_lshlrev_b64_e32 v[54:55], 4, v[6:7]
	v_mov_b64_e32 v[6:7], v[4:5]
.LBB2_8:
	s_wait_xcnt 0x0
	s_or_b32 exec_lo, exec_lo, s0
	s_load_b32 s0, s[8:9], 0x0
	s_clause 0x1
	flat_load_u16 v13, v[2:3] offset:8
	flat_load_b32 v12, v[2:3] offset:4
	s_bfe_u32 s1, ttmp6, 0x4000c
	s_and_b32 s2, ttmp6, 15
	s_add_co_i32 s1, s1, 1
	s_getreg_b32 s3, hwreg(HW_REG_IB_STS2, 6, 4)
	s_mul_i32 s1, ttmp9, s1
	v_mov_b32_e32 v1, 0
	s_add_co_i32 s2, s2, s1
	s_cmp_eq_u32 s3, 0
	s_mov_b32 s1, 0
	s_cselect_b32 s2, ttmp9, s2
	v_mov_b64_e32 v[26:27], 0
	s_wait_kmcnt 0x0
	s_cmp_lt_u32 s2, s0
	s_cselect_b32 s0, 12, 18
	s_delay_alu instid0(SALU_CYCLE_1)
	s_add_nc_u64 s[2:3], s[8:9], s[0:1]
	flat_load_b128 v[8:11], v[2:3] offset:16
	global_load_u16 v21, v1, s[2:3]
	s_wait_xcnt 0x0
	v_ashrrev_i32_e32 v1, 31, v0
	s_trap 2
	ds_load_b32 v2, v0
	v_lshrrev_b32_e32 v3, 27, v1
	s_delay_alu instid0(VALU_DEP_1) | instskip(NEXT) | instid1(VALU_DEP_1)
	v_add_nc_u32_e32 v3, v0, v3
	v_and_b32_e32 v3, 0xffffffe0, v3
	s_wait_dscnt 0x0
	v_cmp_gt_i32_e32 vcc_lo, 0, v2
	v_readfirstlane_b32 s2, v2
	s_and_b32 vcc_lo, exec_lo, vcc_lo
	s_wait_loadcnt 0x2
	v_lshrrev_b64 v[14:15], 31, v[12:13]
	v_sub_nc_u32_e32 v12, v0, v3
	s_delay_alu instid0(VALU_DEP_1) | instskip(NEXT) | instid1(VALU_DEP_3)
	v_cmp_eq_u32_e64 s0, 0, v12
	v_and_b32_e32 v3, 3, v14
	s_delay_alu instid0(VALU_DEP_1)
	v_and_b32_e32 v13, 0xffff, v3
	s_cbranch_vccnz .LBB2_10
; %bb.9:
	s_trap 2
	ds_load_b64 v[14:15], v0
	s_mov_b32 s1, 1
	s_wait_dscnt 0x0
	v_readfirstlane_b32 s4, v14
	v_readfirstlane_b32 s5, v15
	flat_load_b64 v[2:3], v2, s[4:5] scale_offset
	s_wait_loadcnt_dscnt 0x0
	v_mad_nc_u64_u32 v[2:3], 0xa8, v13, v[2:3]
	s_clause 0x1
	flat_load_b64 v[32:33], v[2:3] offset:504
	flat_load_b64 v[34:35], v[2:3] offset:608
	v_add_nc_u64_e32 v[28:29], 0x1f8, v[2:3]
	s_wait_xcnt 0x0
	s_delay_alu instid0(VALU_DEP_1)
	v_dual_cndmask_b32 v3, 0, v29, s0 :: v_dual_cndmask_b32 v2, 0, v28, s0
	s_branch .LBB2_11
.LBB2_10:
	v_mov_b64_e32 v[28:29], 0
	v_mov_b64_e32 v[2:3], 0
                                        ; implicit-def: $vgpr34_vgpr35
                                        ; implicit-def: $vgpr32_vgpr33
.LBB2_11:
	s_trap 2
	ds_load_b32 v14, v0
	s_wait_dscnt 0x0
	v_cmp_gt_i32_e32 vcc_lo, 0, v14
	s_cbranch_vccnz .LBB2_13
; %bb.12:
	s_trap 2
	ds_load_b64 v[16:17], v0
	v_cmp_eq_u32_e32 vcc_lo, 0, v12
	s_wait_dscnt 0x0
	v_readfirstlane_b32 s4, v16
	v_readfirstlane_b32 s5, v17
	flat_load_b64 v[14:15], v14, s[4:5] scale_offset
	s_wait_loadcnt_dscnt 0x0
	v_mad_nc_u64_u32 v[26:27], 0xa8, v13, v[14:15]
	s_clause 0x1
	flat_load_b64 v[36:37], v[26:27]
	flat_load_b64 v[16:17], v[26:27] offset:104
	v_dual_cndmask_b32 v53, 0, v27 :: v_dual_cndmask_b32 v52, 0, v26
	s_branch .LBB2_14
.LBB2_13:
	v_mov_b64_e32 v[52:53], 0
                                        ; implicit-def: $vgpr16_vgpr17
                                        ; implicit-def: $vgpr36_vgpr37
.LBB2_14:
	s_wait_xcnt 0x2
	v_subrev_nc_u32_e32 v14, 32, v20
	v_cmp_gt_i32_e32 vcc_lo, s1, v12
	v_mov_b64_e32 v[12:13], 0
	v_mov_b64_e32 v[48:49], 0
                                        ; implicit-def: $vgpr38_vgpr39
	s_delay_alu instid0(VALU_DEP_4)
	v_cmp_ge_i32_e64 s0, v0, v14
	s_and_b32 s9, s0, vcc_lo
	s_wait_xcnt 0x0
	s_and_saveexec_b32 s0, s9
	s_cbranch_execz .LBB2_16
; %bb.15:
	s_clause 0x1
	flat_load_b64 v[48:49], v[2:3] offset:56
	flat_load_b64 v[38:39], v[2:3] offset:104
.LBB2_16:
	s_wait_xcnt 0x0
	s_or_b32 exec_lo, exec_lo, s0
	v_mov_b64_e32 v[50:51], 0
	v_cmp_gt_i32_e64 s0, s1, v0
                                        ; implicit-def: $vgpr64_vgpr65
	s_and_saveexec_b32 s1, s0
	s_cbranch_execz .LBB2_18
; %bb.17:
	flat_load_b64 v[50:51], v[52:53] offset:56
	s_wait_loadcnt_dscnt 0x0
	flat_load_b64 v[64:65], v[50:51] scope:SCOPE_SYS
	s_wait_loadcnt 0x0
	flat_load_b128 v[12:15], v[52:53] offset:96
.LBB2_18:
	s_wait_xcnt 0x0
	s_or_b32 exec_lo, exec_lo, s1
	v_mov_b64_e32 v[52:53], 0
	s_wait_loadcnt 0x0
	v_and_b32_e32 v56, 0xffff, v21
	s_mov_b32 s14, exec_lo
	v_cmpx_ne_u64_e32 0, v[6:7]
	s_cbranch_execnz .LBB2_34
; %bb.19:
	s_or_b32 exec_lo, exec_lo, s14
	s_and_saveexec_b32 s1, s9
	s_cbranch_execnz .LBB2_864
.LBB2_20:
	s_or_b32 exec_lo, exec_lo, s1
	s_and_saveexec_b32 s1, s0
	s_cbranch_execz .LBB2_22
.LBB2_21:
	s_wait_dscnt 0x0
	flat_store_b64 v[26:27], v[14:15] offset:104
.LBB2_22:
	s_wait_xcnt 0x0
	s_or_b32 exec_lo, exec_lo, s1
	s_delay_alu instid0(SALU_CYCLE_1)
	s_mov_b32 s0, exec_lo
	v_cmpx_ne_u32_e32 32, v20
	s_cbranch_execz .LBB2_871
; %bb.23:
	s_mov_b32 s1, exec_lo
	v_cmpx_ne_u32_e64 v20, v56
	s_xor_b32 s1, exec_lo, s1
	s_cbranch_execz .LBB2_869
; %bb.24:
	v_and_b32_e32 v0, 31, v31
	s_mov_b32 s2, exec_lo
	s_delay_alu instid0(VALU_DEP_1)
	v_cmpx_eq_u32_e32 0, v0
	s_cbranch_execz .LBB2_868
; %bb.25:
	s_mov_b32 s4, exec_lo
	s_mov_b32 s3, exec_lo
	v_mbcnt_lo_u32_b32 v0, s4, 0
	global_wb scope:SCOPE_DEV
	s_wait_storecnt 0x0
	s_wait_loadcnt_dscnt 0x0
	global_inv scope:SCOPE_DEV
	v_cmpx_eq_u32_e32 0, v0
	s_cbranch_execz .LBB2_27
; %bb.26:
	s_bcnt1_i32_b32 s4, s4
	s_delay_alu instid0(SALU_CYCLE_1)
	v_dual_mov_b32 v1, 0 :: v_dual_mov_b32 v0, s4
	s_wait_loadcnt 0x0
	ds_add_u64 v0, v[0:1]
	s_trap 2
.LBB2_27:
	s_or_b32 exec_lo, exec_lo, s3
	s_trap 2
	ds_load_b64 v[2:3], v0
	s_wait_dscnt 0x0
	v_dual_mov_b32 v1, 0 :: v_dual_lshrrev_b32 v0, 5, v20
	s_mov_b32 s3, exec_lo
	s_delay_alu instid0(VALU_DEP_1) | instskip(NEXT) | instid1(VALU_DEP_1)
	v_add_nc_u64_e32 v[0:1], v[52:53], v[0:1]
	v_cmpx_lt_u64_e64 v[2:3], v[0:1]
	s_cbranch_execz .LBB2_867
; %bb.28:
	s_mov_b32 s4, 0
	s_mov_b32 s7, 0
                                        ; implicit-def: $sgpr5
                                        ; implicit-def: $sgpr6
	s_branch .LBB2_30
.LBB2_29:                               ;   in Loop: Header=BB2_30 Depth=1
	s_or_b32 exec_lo, exec_lo, s9
	s_delay_alu instid0(SALU_CYCLE_1) | instskip(NEXT) | instid1(SALU_CYCLE_1)
	s_and_b32 s8, exec_lo, s10
	s_or_b32 s4, s8, s4
	s_and_not1_b32 s5, s5, exec_lo
	s_and_b32 s8, s6, exec_lo
	s_delay_alu instid0(SALU_CYCLE_1)
	s_or_b32 s5, s5, s8
	s_and_not1_b32 exec_lo, exec_lo, s4
	s_cbranch_execz .LBB2_865
.LBB2_30:                               ; =>This Inner Loop Header: Depth=1
	s_add_co_i32 s7, s7, 1
	s_delay_alu instid0(SALU_CYCLE_1) | instskip(SKIP_1) | instid1(SALU_CYCLE_1)
	s_cmp_lg_u32 s7, 0x2710
	s_cselect_b32 s8, -1, 0
	s_and_b32 vcc_lo, exec_lo, s8
	s_cbranch_vccz .LBB2_32
; %bb.31:                               ;   in Loop: Header=BB2_30 Depth=1
	s_mov_b32 s10, -1
	s_or_b32 s6, s6, exec_lo
	s_and_saveexec_b32 s9, s8
	s_cbranch_execz .LBB2_29
	s_branch .LBB2_33
.LBB2_32:                               ;   in Loop: Header=BB2_30 Depth=1
	s_trap 2
	ds_load_b64 v[2:3], v0
	s_and_not1_b32 s8, s8, exec_lo
	s_mov_b32 s7, 0
	s_wait_loadcnt_dscnt 0x0
	flat_load_b32 v2, v[2:3] scope:SCOPE_SYS
	s_wait_loadcnt_dscnt 0x0
	global_inv scope:SCOPE_SYS
	v_cmp_eq_u32_e32 vcc_lo, 0, v2
	s_and_b32 s9, vcc_lo, exec_lo
	s_delay_alu instid0(SALU_CYCLE_1)
	s_or_b32 s8, s8, s9
	s_mov_b32 s10, -1
	s_or_b32 s6, s6, exec_lo
	s_and_saveexec_b32 s9, s8
	s_cbranch_execz .LBB2_29
.LBB2_33:                               ;   in Loop: Header=BB2_30 Depth=1
	s_sleep 1
	s_trap 2
	ds_load_b64 v[2:3], v0
	s_wait_dscnt 0x0
	s_and_not1_b32 s6, s6, exec_lo
	v_cmp_ge_u64_e32 vcc_lo, v[2:3], v[0:1]
	s_or_not1_b32 s10, vcc_lo, exec_lo
	s_branch .LBB2_29
.LBB2_34:
	v_add_nc_u64_e32 v[2:3], v[68:69], v[4:5]
	v_mov_b32_e32 v55, 0
	s_ashr_i32 s1, s2, 31
	s_ashr_i32 s11, s10, 31
	s_lshr_b32 s1, s1, 29
	v_mov_b64_e32 v[80:81], 0
	s_add_co_i32 s2, s2, s1
	v_add_nc_u64_e32 v[68:69], v[2:3], v[18:19]
	v_dual_mov_b32 v67, v55 :: v_dual_bitop2_b32 v2, 31, v31 bitop3:0x40
	v_lshlrev_b32_e32 v82, 3, v0
	v_dual_mov_b32 v87, v55 :: v_dual_lshrrev_b32 v84, 5, v20
	v_mov_b32_e32 v21, v55
	s_delay_alu instid0(VALU_DEP_4)
	v_cmp_eq_u32_e64 s5, 0, v2
	v_add_nc_u64_e32 v[2:3], v[24:25], v[10:11]
	v_ashrrev_i32_e32 v83, 31, v82
	s_ashr_i32 s4, s2, 3
	s_ashr_i32 s15, s2, 7
	s_lshl_b64 s[2:3], s[10:11], 2
	v_cmp_ne_u64_e64 s1, 0, v[50:51]
	v_add_nc_u64_e32 v[70:71], s[2:3], v[22:23]
	s_wait_dscnt 0x0
	v_cmp_ne_u64_e64 s2, 0, v[12:13]
	v_add_nc_u64_e32 v[96:97], v[10:11], v[82:83]
	v_cmp_ne_u64_e64 s6, 0, v[48:49]
	v_add_nc_u64_e32 v[8:9], v[8:9], v[82:83]
	v_add_nc_u64_e32 v[98:99], v[2:3], v[82:83]
	v_lshlrev_b64_e32 v[102:103], 4, v[20:21]
	v_mov_b64_e32 v[52:53], 0
	v_and_b32_e32 v66, 0x1fffff0, v54
	s_and_b32 s11, s4, -16
	v_cmp_ne_u32_e64 s3, 32, v20
	v_cmp_ne_u32_e64 s4, v20, v56
	v_dual_mov_b32 v85, v55 :: v_dual_lshlrev_b32 v86, 3, v20
	v_lshlrev_b32_e32 v57, 6, v20
	v_lshl_add_u64 v[100:101], v[0:1], 4, v[36:37]
	v_mov_b32_e32 v1, 1
	v_mov_b32_e32 v21, 0x7f800000
	v_dual_mov_b32 v58, 0x7c :: v_dual_mov_b32 v59, 0
	s_cmp_gt_i32 s10, 2
	s_mov_b64 s[12:13], 0xffffffffffffff
	s_mov_b32 s16, 0
	s_cselect_b32 s17, -1, 0
	s_branch .LBB2_36
.LBB2_35:                               ;   in Loop: Header=BB2_36 Depth=1
	s_wait_xcnt 0x0
	s_or_b32 exec_lo, exec_lo, s7
	v_add_nc_u64_e32 v[80:81], v[80:81], v[66:67]
	v_add_nc_u64_e32 v[34:35], 1, v[34:35]
	;; [unrolled: 1-line block ×3, first 2 shown]
	s_delay_alu instid0(VALU_DEP_3) | instskip(SKIP_1) | instid1(SALU_CYCLE_1)
	v_cmp_ge_u64_e32 vcc_lo, v[80:81], v[6:7]
	s_or_b32 s16, vcc_lo, s16
	s_and_not1_b32 exec_lo, exec_lo, s16
	s_cbranch_execz .LBB2_863
.LBB2_36:                               ; =>This Loop Header: Depth=1
                                        ;     Child Loop BB2_41 Depth 2
                                        ;     Child Loop BB2_60 Depth 2
	;; [unrolled: 1-line block ×5, first 2 shown]
                                        ;       Child Loop BB2_90 Depth 3
                                        ;       Child Loop BB2_109 Depth 3
	;; [unrolled: 1-line block ×3, first 2 shown]
                                        ;         Child Loop BB2_138 Depth 4
                                        ;       Child Loop BB2_473 Depth 3
                                        ;       Child Loop BB2_126 Depth 3
                                        ;     Child Loop BB2_489 Depth 2
                                        ;       Child Loop BB2_497 Depth 3
                                        ;     Child Loop BB2_851 Depth 2
	s_wait_loadcnt_dscnt 0x0
	flat_load_b32 v19, v[70:71] offset:-4
	v_sub_nc_u64_e32 v[2:3], v[6:7], v[80:81]
	s_delay_alu instid0(VALU_DEP_1) | instskip(NEXT) | instid1(VALU_DEP_1)
	v_min_u64 v[2:3], v[66:67], v[2:3]
	v_lshl_add_u32 v3, v2, 1, 14
	s_delay_alu instid0(VALU_DEP_1)
	v_and_b32_e32 v30, 0x7fffff0, v3
	s_wait_xcnt 0x0
	s_and_saveexec_b32 s8, s1
	s_cbranch_execz .LBB2_52
; %bb.37:                               ;   in Loop: Header=BB2_36 Depth=1
	v_add_nc_u64_e32 v[4:5], 1, v[14:15]
	v_add_nc_u64_e32 v[112:113], 8, v[64:65]
	s_mov_b32 s18, exec_lo
	s_delay_alu instid0(VALU_DEP_1)
	v_cmpx_lt_u64_e64 v[112:113], v[4:5]
	s_cbranch_execz .LBB2_49
; %bb.38:                               ;   in Loop: Header=BB2_36 Depth=1
	s_mov_b32 s19, 0
	s_mov_b32 s23, 0
	v_cmp_eq_u32_e32 vcc_lo, 0, v59
                                        ; implicit-def: $sgpr20
                                        ; implicit-def: $sgpr21
                                        ; implicit-def: $sgpr22
	s_branch .LBB2_41
.LBB2_39:                               ;   in Loop: Header=BB2_41 Depth=2
	s_or_b32 exec_lo, exec_lo, s28
	v_mov_b32_e32 v15, 0
	s_and_not1_b32 s7, s22, exec_lo
	s_and_b32 s22, s26, exec_lo
	s_and_not1_b32 s21, s21, exec_lo
	s_and_b32 s25, s25, exec_lo
	s_or_b32 s22, s7, s22
	s_or_b32 s21, s21, s25
.LBB2_40:                               ;   in Loop: Header=BB2_41 Depth=2
	s_or_b32 exec_lo, exec_lo, s24
	s_delay_alu instid0(SALU_CYCLE_1) | instskip(NEXT) | instid1(SALU_CYCLE_1)
	s_and_b32 s7, exec_lo, s21
	s_or_b32 s19, s7, s19
	s_and_not1_b32 s7, s20, exec_lo
	s_and_b32 s20, s22, exec_lo
	s_delay_alu instid0(SALU_CYCLE_1)
	s_or_b32 s20, s7, s20
	s_and_not1_b32 exec_lo, exec_lo, s19
	s_cbranch_execz .LBB2_46
.LBB2_41:                               ;   Parent Loop BB2_36 Depth=1
                                        ; =>  This Inner Loop Header: Depth=2
	s_sleep 1
	s_wait_loadcnt_dscnt 0x0
	flat_load_b64 v[64:65], v[50:51] scope:SCOPE_DEV
	v_mov_b32_e32 v15, v59
	s_or_b32 s22, s22, exec_lo
	s_or_b32 s21, s21, exec_lo
                                        ; implicit-def: $vgpr3
	s_wait_xcnt 0x0
	s_and_saveexec_b32 s24, vcc_lo
	s_cbranch_execz .LBB2_40
; %bb.42:                               ;   in Loop: Header=BB2_41 Depth=2
	s_add_co_i32 s23, s23, 1
	s_mov_b32 s25, -1
	s_cmp_lg_u32 s23, 0x2710
	s_mov_b32 s26, -1
	s_cselect_b32 s27, -1, 0
	s_cmp_eq_u32 s23, 0x2710
                                        ; implicit-def: $vgpr3
	s_cbranch_scc1 .LBB2_44
; %bb.43:                               ;   in Loop: Header=BB2_41 Depth=2
	s_and_saveexec_b32 s28, s27
	s_cbranch_execz .LBB2_39
	s_branch .LBB2_45
.LBB2_44:                               ;   in Loop: Header=BB2_41 Depth=2
	s_trap 2
	ds_load_b64 v[112:113], v0
	s_and_not1_b32 s23, s27, exec_lo
	s_mov_b32 s26, 0
	s_wait_storecnt 0x0
	s_wait_loadcnt_dscnt 0x0
	flat_load_b32 v3, v[112:113] scope:SCOPE_SYS
	s_wait_loadcnt_dscnt 0x0
	global_inv scope:SCOPE_SYS
	v_cmp_eq_u32_e64 s7, 0, v3
	s_and_b32 s7, s7, exec_lo
	s_delay_alu instid0(SALU_CYCLE_1)
	s_or_b32 s27, s23, s7
	s_mov_b32 s23, 0
	s_and_saveexec_b32 s28, s27
	s_cbranch_execz .LBB2_39
.LBB2_45:                               ;   in Loop: Header=BB2_41 Depth=2
	s_wait_loadcnt_dscnt 0x0
	v_add_nc_u64_e32 v[112:113], 8, v[64:65]
	s_or_b32 s26, s26, exec_lo
	s_delay_alu instid0(VALU_DEP_1)
	v_cmp_ge_u64_e64 s7, v[112:113], v[4:5]
	s_or_not1_b32 s25, s7, exec_lo
	s_branch .LBB2_39
.LBB2_46:                               ;   in Loop: Header=BB2_36 Depth=1
	s_or_b32 exec_lo, exec_lo, s19
	s_xor_b32 s7, s20, -1
	s_delay_alu instid0(SALU_CYCLE_1) | instskip(NEXT) | instid1(SALU_CYCLE_1)
	s_and_saveexec_b32 s19, s7
	s_xor_b32 s7, exec_lo, s19
	s_cbranch_execz .LBB2_48
; %bb.47:                               ;   in Loop: Header=BB2_36 Depth=1
	v_mov_b32_e32 v15, 1
	s_wait_storecnt 0x0
	s_wait_loadcnt_dscnt 0x0
	ds_store_b32 v0, v3
	s_trap 2
.LBB2_48:                               ;   in Loop: Header=BB2_36 Depth=1
	s_or_b32 exec_lo, exec_lo, s7
	v_mov_b32_e32 v59, v15
.LBB2_49:                               ;   in Loop: Header=BB2_36 Depth=1
	s_or_b32 exec_lo, exec_lo, s18
	s_and_saveexec_b32 s7, s2
	s_cbranch_execz .LBB2_51
; %bb.50:                               ;   in Loop: Header=BB2_36 Depth=1
	v_and_b32_e32 v54, 0x7ffffff8, v14
	s_delay_alu instid0(VALU_DEP_1) | instskip(SKIP_1) | instid1(VALU_DEP_1)
	v_cmp_eq_u64_e32 vcc_lo, 0x7ffffff8, v[54:55]
	v_cndmask_b32_e64 v112, v30, s11, vcc_lo
	v_dual_ashrrev_i32 v113, 31, v112 :: v_dual_bitop2_b32 v3, 7, v14 bitop3:0x40
	s_delay_alu instid0(VALU_DEP_1)
	v_mad_nc_u64_u32 v[14:15], v3, 24, v[12:13]
	flat_store_b64 v[14:15], v[112:113] offset:8 scope:SCOPE_SYS
	s_wait_storecnt 0x0
.LBB2_51:                               ;   in Loop: Header=BB2_36 Depth=1
	s_wait_xcnt 0x0
	s_or_b32 exec_lo, exec_lo, s7
	v_mov_b64_e32 v[14:15], v[4:5]
.LBB2_52:                               ;   in Loop: Header=BB2_36 Depth=1
	s_or_b32 exec_lo, exec_lo, s8
	s_and_saveexec_b32 s7, s3
	s_cbranch_execz .LBB2_71
; %bb.53:                               ;   in Loop: Header=BB2_36 Depth=1
	s_and_saveexec_b32 s8, s4
	s_delay_alu instid0(SALU_CYCLE_1)
	s_xor_b32 s8, exec_lo, s8
	s_cbranch_execz .LBB2_68
; %bb.54:                               ;   in Loop: Header=BB2_36 Depth=1
	s_and_saveexec_b32 s18, s5
	s_cbranch_execz .LBB2_67
; %bb.55:                               ;   in Loop: Header=BB2_36 Depth=1
	s_mov_b32 s20, exec_lo
	s_mov_b32 s19, exec_lo
	v_mbcnt_lo_u32_b32 v3, s20, 0
	global_wb scope:SCOPE_DEV
	s_wait_storecnt 0x0
	s_wait_loadcnt_dscnt 0x0
	global_inv scope:SCOPE_DEV
	v_cmpx_eq_u32_e32 0, v3
	s_cbranch_execz .LBB2_57
; %bb.56:                               ;   in Loop: Header=BB2_36 Depth=1
	s_bcnt1_i32_b32 s20, s20
	s_delay_alu instid0(SALU_CYCLE_1)
	v_mov_b32_e32 v54, s20
	s_wait_loadcnt 0x0
	ds_add_u64 v0, v[54:55]
	s_trap 2
.LBB2_57:                               ;   in Loop: Header=BB2_36 Depth=1
	s_or_b32 exec_lo, exec_lo, s19
	s_trap 2
	ds_load_b64 v[4:5], v0
	s_wait_dscnt 0x0
	v_add_nc_u64_e32 v[52:53], v[52:53], v[84:85]
	s_mov_b32 s19, exec_lo
	s_delay_alu instid0(VALU_DEP_1)
	v_cmpx_lt_u64_e64 v[4:5], v[52:53]
	s_cbranch_execz .LBB2_66
; %bb.58:                               ;   in Loop: Header=BB2_36 Depth=1
	s_mov_b32 s20, 0
	s_mov_b32 s23, 0
                                        ; implicit-def: $sgpr21
                                        ; implicit-def: $sgpr22
	s_branch .LBB2_60
.LBB2_59:                               ;   in Loop: Header=BB2_60 Depth=2
	s_or_b32 exec_lo, exec_lo, s25
	s_delay_alu instid0(SALU_CYCLE_1) | instskip(NEXT) | instid1(SALU_CYCLE_1)
	s_and_b32 s24, exec_lo, s26
	s_or_b32 s20, s24, s20
	s_and_not1_b32 s21, s21, exec_lo
	s_and_b32 s24, s22, exec_lo
	s_delay_alu instid0(SALU_CYCLE_1)
	s_or_b32 s21, s21, s24
	s_and_not1_b32 exec_lo, exec_lo, s20
	s_cbranch_execz .LBB2_64
.LBB2_60:                               ;   Parent Loop BB2_36 Depth=1
                                        ; =>  This Inner Loop Header: Depth=2
	s_add_co_i32 s23, s23, 1
	s_delay_alu instid0(SALU_CYCLE_1) | instskip(SKIP_1) | instid1(SALU_CYCLE_1)
	s_cmp_lg_u32 s23, 0x2710
	s_cselect_b32 s24, -1, 0
	s_and_b32 vcc_lo, exec_lo, s24
	s_cbranch_vccz .LBB2_62
; %bb.61:                               ;   in Loop: Header=BB2_60 Depth=2
	s_mov_b32 s26, -1
	s_or_b32 s22, s22, exec_lo
	s_and_saveexec_b32 s25, s24
	s_cbranch_execz .LBB2_59
	s_branch .LBB2_63
.LBB2_62:                               ;   in Loop: Header=BB2_60 Depth=2
	s_trap 2
	ds_load_b64 v[4:5], v0
	s_and_not1_b32 s24, s24, exec_lo
	s_mov_b32 s23, 0
	s_wait_loadcnt_dscnt 0x0
	flat_load_b32 v3, v[4:5] scope:SCOPE_SYS
	s_wait_loadcnt_dscnt 0x0
	global_inv scope:SCOPE_SYS
	v_cmp_eq_u32_e32 vcc_lo, 0, v3
	s_and_b32 s25, vcc_lo, exec_lo
	s_delay_alu instid0(SALU_CYCLE_1)
	s_or_b32 s24, s24, s25
	s_mov_b32 s26, -1
	s_or_b32 s22, s22, exec_lo
	s_and_saveexec_b32 s25, s24
	s_cbranch_execz .LBB2_59
.LBB2_63:                               ;   in Loop: Header=BB2_60 Depth=2
	s_sleep 1
	s_trap 2
	ds_load_b64 v[4:5], v0
	s_wait_dscnt 0x0
	s_and_not1_b32 s22, s22, exec_lo
	v_cmp_ge_u64_e32 vcc_lo, v[4:5], v[52:53]
	s_or_not1_b32 s26, vcc_lo, exec_lo
	s_branch .LBB2_59
.LBB2_64:                               ;   in Loop: Header=BB2_36 Depth=1
	s_or_b32 exec_lo, exec_lo, s20
	s_and_saveexec_b32 s20, s21
	s_delay_alu instid0(SALU_CYCLE_1)
	s_xor_b32 s20, exec_lo, s20
	s_cbranch_execz .LBB2_66
; %bb.65:                               ;   in Loop: Header=BB2_36 Depth=1
	ds_store_b32 v0, v1
	s_trap 2
.LBB2_66:                               ;   in Loop: Header=BB2_36 Depth=1
	s_or_b32 exec_lo, exec_lo, s19
	;;#ASMSTART
	s_wakeup
	;;#ASMEND
.LBB2_67:                               ;   in Loop: Header=BB2_36 Depth=1
	s_or_b32 exec_lo, exec_lo, s18
.LBB2_68:                               ;   in Loop: Header=BB2_36 Depth=1
	s_and_not1_saveexec_b32 s8, s8
	s_cbranch_execz .LBB2_70
; %bb.69:                               ;   in Loop: Header=BB2_36 Depth=1
	global_wb scope:SCOPE_DEV
	s_wait_storecnt 0x0
	s_wait_loadcnt_dscnt 0x0
	global_inv scope:SCOPE_DEV
	s_barrier_signal -1
	s_barrier_wait -1
.LBB2_70:                               ;   in Loop: Header=BB2_36 Depth=1
	s_or_b32 exec_lo, exec_lo, s8
.LBB2_71:                               ;   in Loop: Header=BB2_36 Depth=1
	s_delay_alu instid0(SALU_CYCLE_1) | instskip(SKIP_2) | instid1(VALU_DEP_2)
	s_or_b32 exec_lo, exec_lo, s7
	v_dual_sub_nc_u32 v60, v2, v82 :: v_dual_bitop2_b32 v116, 7, v16 bitop3:0x40
	v_dual_mov_b32 v18, v0 :: v_dual_add_nc_u32 v3, 1, v16
	v_cmp_lt_i32_e64 s7, 0, v60
	s_and_saveexec_b32 s8, s7
	s_cbranch_execz .LBB2_79
; %bb.72:                               ;   in Loop: Header=BB2_36 Depth=1
	s_wait_loadcnt_dscnt 0x0
	v_mad_nc_u64_u32 v[112:113], v68, v19, v[98:99]
	v_mul_lo_u32 v4, v116, s15
	v_mul_lo_u32 v18, v68, v19
	v_mov_b32_e32 v117, v60
	s_mov_b32 s18, 0
	s_delay_alu instid0(VALU_DEP_4) | instskip(NEXT) | instid1(VALU_DEP_4)
	v_mad_u32 v2, v69, v19, v113
	v_dual_ashrrev_i32 v19, 31, v19 :: v_dual_ashrrev_i32 v5, 31, v4
	s_delay_alu instid0(VALU_DEP_1) | instskip(NEXT) | instid1(VALU_DEP_2)
	v_lshl_add_u64 v[114:115], v[4:5], 4, v[100:101]
	v_mad_u32 v113, v68, v19, v2
	v_add_lshl_u32 v19, v98, v18, 3
	v_mov_b32_e32 v18, v0
	s_branch .LBB2_74
.LBB2_73:                               ;   in Loop: Header=BB2_74 Depth=2
	s_wait_xcnt 0x0
	s_or_b32 exec_lo, exec_lo, s19
	s_wait_loadcnt 0x0
	v_alignbit_b32 v2, v119, v2, v19
	v_alignbit_b32 v4, v118, v119, v19
	v_dual_mov_b32 v5, v3 :: v_dual_sub_nc_u32 v117, v117, v86
	v_add_nc_u64_e32 v[112:113], v[112:113], v[86:87]
	v_dual_add_nc_u32 v18, v18, v20 :: v_dual_add_nc_u32 v19, v19, v57
	global_store_b128 v[114:115], v[2:5], off
	v_cmp_gt_i32_e32 vcc_lo, 1, v117
	s_wait_xcnt 0x0
	v_add_nc_u64_e32 v[114:115], v[114:115], v[102:103]
	s_or_b32 s18, vcc_lo, s18
	s_delay_alu instid0(SALU_CYCLE_1)
	s_and_not1_b32 exec_lo, exec_lo, s18
	s_cbranch_execz .LBB2_78
.LBB2_74:                               ;   Parent Loop BB2_36 Depth=1
                                        ; =>  This Inner Loop Header: Depth=2
	s_delay_alu instid0(VALU_DEP_3)
	v_dual_mov_b32 v5, v113 :: v_dual_bitop2_b32 v4, -4, v112 bitop3:0x40
	v_min_u32_e32 v54, 8, v117
	v_dual_mov_b32 v119, 0 :: v_dual_bitop2_b32 v118, 3, v112 bitop3:0x40
	s_mov_b32 s19, exec_lo
	global_load_b32 v2, v[4:5], off th:TH_LOAD_NT
	v_dual_add_nc_u32 v54, v118, v54 :: v_dual_mov_b32 v118, 0
	s_wait_xcnt 0x0
	s_delay_alu instid0(VALU_DEP_1)
	v_cmpx_lt_u32_e32 4, v54
	s_cbranch_execz .LBB2_76
; %bb.75:                               ;   in Loop: Header=BB2_74 Depth=2
	global_load_b32 v119, v[4:5], off offset:4 th:TH_LOAD_NT
.LBB2_76:                               ;   in Loop: Header=BB2_74 Depth=2
	s_wait_xcnt 0x0
	s_or_b32 exec_lo, exec_lo, s19
	s_delay_alu instid0(SALU_CYCLE_1)
	s_mov_b32 s19, exec_lo
	v_cmpx_lt_u64_e32 8, v[54:55]
	s_cbranch_execz .LBB2_73
; %bb.77:                               ;   in Loop: Header=BB2_74 Depth=2
	global_load_b32 v118, v[4:5], off offset:8 th:TH_LOAD_NT
	s_branch .LBB2_73
.LBB2_78:                               ;   in Loop: Header=BB2_36 Depth=1
	s_or_b32 exec_lo, exec_lo, s18
.LBB2_79:                               ;   in Loop: Header=BB2_36 Depth=1
	s_delay_alu instid0(SALU_CYCLE_1) | instskip(SKIP_2) | instid1(VALU_DEP_2)
	s_or_b32 exec_lo, exec_lo, s8
	v_and_b32_e32 v54, 0x7ffffff8, v16
	v_cmp_gt_i32_e64 s8, s15, v18
	v_cmp_eq_u64_e32 vcc_lo, 0x7ffffff8, v[54:55]
	s_and_b32 s18, vcc_lo, s8
	s_delay_alu instid0(SALU_CYCLE_1)
	s_and_saveexec_b32 s8, s18
	s_cbranch_execz .LBB2_82
; %bb.80:                               ;   in Loop: Header=BB2_36 Depth=1
	v_mul_lo_u32 v4, v116, s15
	v_mov_b32_e32 v2, v55
	s_mov_b32 s18, 0
	s_wait_loadcnt_dscnt 0x0
	s_delay_alu instid0(VALU_DEP_2) | instskip(NEXT) | instid1(VALU_DEP_1)
	v_dual_ashrrev_i32 v19, 31, v18 :: v_dual_ashrrev_i32 v5, 31, v4
	v_lshlrev_b64_e32 v[4:5], 4, v[4:5]
	s_delay_alu instid0(VALU_DEP_1) | instskip(NEXT) | instid1(VALU_DEP_1)
	v_lshl_add_u64 v[4:5], v[18:19], 4, v[4:5]
	v_add_nc_u64_e32 v[112:113], v[36:37], v[4:5]
.LBB2_81:                               ;   Parent Loop BB2_36 Depth=1
                                        ; =>  This Inner Loop Header: Depth=2
	v_dual_mov_b32 v4, v2 :: v_dual_mov_b32 v5, v3
	v_add_nc_u32_e32 v18, v18, v20
	global_store_b128 v[112:113], v[2:5], off
	v_cmp_le_i32_e32 vcc_lo, s15, v18
	s_wait_xcnt 0x0
	v_add_nc_u64_e32 v[112:113], v[112:113], v[102:103]
	s_or_b32 s18, vcc_lo, s18
	s_delay_alu instid0(SALU_CYCLE_1)
	s_and_not1_b32 exec_lo, exec_lo, s18
	s_cbranch_execnz .LBB2_81
.LBB2_82:                               ;   in Loop: Header=BB2_36 Depth=1
	s_or_b32 exec_lo, exec_lo, s8
	v_add_nc_u64_e32 v[112:113], v[80:81], v[24:25]
	v_add_nc_u64_e32 v[114:115], 1, v[16:17]
	s_and_not1_b32 vcc_lo, exec_lo, s17
	s_cbranch_vccnz .LBB2_484
; %bb.83:                               ;   in Loop: Header=BB2_36 Depth=1
	s_delay_alu instid0(VALU_DEP_2)
	v_add_nc_u64_e32 v[116:117], v[96:97], v[112:113]
	v_add_nc_u16 v61, v16, 1
	s_mov_b32 s18, 2
	s_branch .LBB2_85
.LBB2_84:                               ;   in Loop: Header=BB2_85 Depth=2
	s_or_b32 exec_lo, exec_lo, s8
	v_add_nc_u64_e32 v[34:35], 1, v[34:35]
	v_add_nc_u64_e32 v[114:115], 1, v[114:115]
	v_add_nc_u16 v61, v61, 1
	s_add_co_i32 s18, s18, 1
	s_delay_alu instid0(SALU_CYCLE_1)
	s_cmp_eq_u32 s18, s10
	s_cbranch_scc1 .LBB2_484
.LBB2_85:                               ;   Parent Loop BB2_36 Depth=1
                                        ; =>  This Loop Header: Depth=2
                                        ;       Child Loop BB2_90 Depth 3
                                        ;       Child Loop BB2_109 Depth 3
	;; [unrolled: 1-line block ×3, first 2 shown]
                                        ;         Child Loop BB2_138 Depth 4
                                        ;       Child Loop BB2_473 Depth 3
                                        ;       Child Loop BB2_126 Depth 3
	s_sub_co_i32 s8, s10, s18
	v_readfirstlane_b32 s20, v22
	v_mov_b32_e32 v2, s8
	v_readfirstlane_b32 s21, v23
	s_wait_loadcnt_dscnt 0x0
	flat_load_b32 v4, v2, s[20:21] scale_offset
	s_wait_xcnt 0x0
	s_and_saveexec_b32 s19, s1
	s_cbranch_execz .LBB2_101
; %bb.86:                               ;   in Loop: Header=BB2_85 Depth=2
	v_add_nc_u64_e32 v[2:3], 1, v[14:15]
	s_wait_loadcnt_dscnt 0x101
	v_add_nc_u64_e32 v[16:17], 8, v[64:65]
	s_mov_b32 s20, exec_lo
	s_delay_alu instid0(VALU_DEP_1)
	v_cmpx_lt_u64_e64 v[16:17], v[2:3]
	s_cbranch_execz .LBB2_98
; %bb.87:                               ;   in Loop: Header=BB2_85 Depth=2
	s_mov_b32 s21, 0
	s_mov_b32 s25, 0
	v_cmp_eq_u32_e32 vcc_lo, 0, v59
                                        ; implicit-def: $sgpr22
                                        ; implicit-def: $sgpr23
                                        ; implicit-def: $sgpr24
	s_branch .LBB2_90
.LBB2_88:                               ;   in Loop: Header=BB2_90 Depth=3
	s_or_b32 exec_lo, exec_lo, s40
	v_mov_b32_e32 v15, 0
	s_and_not1_b32 s8, s24, exec_lo
	s_and_b32 s24, s28, exec_lo
	s_and_not1_b32 s23, s23, exec_lo
	s_and_b32 s27, s27, exec_lo
	s_or_b32 s24, s8, s24
	s_or_b32 s23, s23, s27
.LBB2_89:                               ;   in Loop: Header=BB2_90 Depth=3
	s_or_b32 exec_lo, exec_lo, s26
	s_delay_alu instid0(SALU_CYCLE_1) | instskip(NEXT) | instid1(SALU_CYCLE_1)
	s_and_b32 s8, exec_lo, s23
	s_or_b32 s21, s8, s21
	s_and_not1_b32 s8, s22, exec_lo
	s_and_b32 s22, s24, exec_lo
	s_delay_alu instid0(SALU_CYCLE_1)
	s_or_b32 s22, s8, s22
	s_and_not1_b32 exec_lo, exec_lo, s21
	s_cbranch_execz .LBB2_95
.LBB2_90:                               ;   Parent Loop BB2_36 Depth=1
                                        ;     Parent Loop BB2_85 Depth=2
                                        ; =>    This Inner Loop Header: Depth=3
	s_sleep 1
	s_wait_loadcnt_dscnt 0x0
	flat_load_b64 v[64:65], v[50:51] scope:SCOPE_DEV
	v_mov_b32_e32 v15, v59
	s_or_b32 s24, s24, exec_lo
	s_or_b32 s23, s23, exec_lo
                                        ; implicit-def: $vgpr5
	s_wait_xcnt 0x0
	s_and_saveexec_b32 s26, vcc_lo
	s_cbranch_execz .LBB2_89
; %bb.91:                               ;   in Loop: Header=BB2_90 Depth=3
	s_add_co_i32 s25, s25, 1
	s_mov_b32 s27, -1
	s_cmp_lg_u32 s25, 0x2710
	s_mov_b32 s28, -1
	s_cselect_b32 s29, -1, 0
	s_cmp_eq_u32 s25, 0x2710
                                        ; implicit-def: $vgpr5
	s_cbranch_scc1 .LBB2_93
; %bb.92:                               ;   in Loop: Header=BB2_90 Depth=3
	s_and_saveexec_b32 s40, s29
	s_cbranch_execz .LBB2_88
	s_branch .LBB2_94
.LBB2_93:                               ;   in Loop: Header=BB2_90 Depth=3
	s_trap 2
	ds_load_b64 v[16:17], v0
	s_and_not1_b32 s25, s29, exec_lo
	s_mov_b32 s28, 0
	s_wait_storecnt 0x0
	s_wait_loadcnt_dscnt 0x0
	flat_load_b32 v5, v[16:17] scope:SCOPE_SYS
	s_wait_loadcnt_dscnt 0x0
	global_inv scope:SCOPE_SYS
	v_cmp_eq_u32_e64 s8, 0, v5
	s_and_b32 s8, s8, exec_lo
	s_delay_alu instid0(SALU_CYCLE_1)
	s_or_b32 s29, s25, s8
	s_mov_b32 s25, 0
	s_and_saveexec_b32 s40, s29
	s_cbranch_execz .LBB2_88
.LBB2_94:                               ;   in Loop: Header=BB2_90 Depth=3
	s_wait_loadcnt_dscnt 0x0
	v_add_nc_u64_e32 v[16:17], 8, v[64:65]
	s_or_b32 s28, s28, exec_lo
	s_delay_alu instid0(VALU_DEP_1)
	v_cmp_ge_u64_e64 s8, v[16:17], v[2:3]
	s_or_not1_b32 s27, s8, exec_lo
	s_branch .LBB2_88
.LBB2_95:                               ;   in Loop: Header=BB2_85 Depth=2
	s_or_b32 exec_lo, exec_lo, s21
	s_xor_b32 s8, s22, -1
	s_delay_alu instid0(SALU_CYCLE_1) | instskip(NEXT) | instid1(SALU_CYCLE_1)
	s_and_saveexec_b32 s21, s8
	s_xor_b32 s8, exec_lo, s21
	s_cbranch_execz .LBB2_97
; %bb.96:                               ;   in Loop: Header=BB2_85 Depth=2
	v_mov_b32_e32 v15, 1
	s_wait_storecnt 0x0
	s_wait_loadcnt_dscnt 0x0
	ds_store_b32 v0, v5
	s_trap 2
.LBB2_97:                               ;   in Loop: Header=BB2_85 Depth=2
	s_or_b32 exec_lo, exec_lo, s8
	v_mov_b32_e32 v59, v15
.LBB2_98:                               ;   in Loop: Header=BB2_85 Depth=2
	s_or_b32 exec_lo, exec_lo, s20
	s_and_saveexec_b32 s8, s2
	s_cbranch_execz .LBB2_100
; %bb.99:                               ;   in Loop: Header=BB2_85 Depth=2
	v_and_b32_e32 v54, 0x7ffffff8, v14
	s_delay_alu instid0(VALU_DEP_1) | instskip(SKIP_1) | instid1(VALU_DEP_1)
	v_cmp_eq_u64_e32 vcc_lo, 0x7ffffff8, v[54:55]
	v_cndmask_b32_e64 v16, v30, s11, vcc_lo
	v_dual_ashrrev_i32 v17, 31, v16 :: v_dual_bitop2_b32 v5, 7, v14 bitop3:0x40
	s_delay_alu instid0(VALU_DEP_1)
	v_mad_nc_u64_u32 v[14:15], v5, 24, v[12:13]
	flat_store_b64 v[14:15], v[16:17] offset:8 scope:SCOPE_SYS
	s_wait_storecnt 0x0
.LBB2_100:                              ;   in Loop: Header=BB2_85 Depth=2
	s_wait_xcnt 0x0
	s_or_b32 exec_lo, exec_lo, s8
	v_mov_b64_e32 v[14:15], v[2:3]
.LBB2_101:                              ;   in Loop: Header=BB2_85 Depth=2
	s_or_b32 exec_lo, exec_lo, s19
	s_and_saveexec_b32 s8, s3
	s_cbranch_execz .LBB2_120
; %bb.102:                              ;   in Loop: Header=BB2_85 Depth=2
	s_and_saveexec_b32 s19, s4
	s_delay_alu instid0(SALU_CYCLE_1)
	s_xor_b32 s19, exec_lo, s19
	s_cbranch_execz .LBB2_117
; %bb.103:                              ;   in Loop: Header=BB2_85 Depth=2
	s_and_saveexec_b32 s20, s5
	s_cbranch_execz .LBB2_116
; %bb.104:                              ;   in Loop: Header=BB2_85 Depth=2
	s_mov_b32 s22, exec_lo
	s_mov_b32 s21, exec_lo
	v_mbcnt_lo_u32_b32 v2, s22, 0
	global_wb scope:SCOPE_DEV
	s_wait_storecnt 0x0
	s_wait_loadcnt_dscnt 0x0
	global_inv scope:SCOPE_DEV
	v_cmpx_eq_u32_e32 0, v2
	s_cbranch_execz .LBB2_106
; %bb.105:                              ;   in Loop: Header=BB2_85 Depth=2
	s_bcnt1_i32_b32 s22, s22
	s_delay_alu instid0(SALU_CYCLE_1)
	v_mov_b32_e32 v54, s22
	s_wait_loadcnt 0x0
	ds_add_u64 v0, v[54:55]
	s_trap 2
.LBB2_106:                              ;   in Loop: Header=BB2_85 Depth=2
	s_or_b32 exec_lo, exec_lo, s21
	s_trap 2
	ds_load_b64 v[2:3], v0
	s_wait_dscnt 0x0
	v_add_nc_u64_e32 v[52:53], v[52:53], v[84:85]
	s_mov_b32 s21, exec_lo
	s_delay_alu instid0(VALU_DEP_1)
	v_cmpx_lt_u64_e64 v[2:3], v[52:53]
	s_cbranch_execz .LBB2_115
; %bb.107:                              ;   in Loop: Header=BB2_85 Depth=2
	s_mov_b32 s22, 0
	s_mov_b32 s25, 0
                                        ; implicit-def: $sgpr23
                                        ; implicit-def: $sgpr24
	s_branch .LBB2_109
.LBB2_108:                              ;   in Loop: Header=BB2_109 Depth=3
	s_or_b32 exec_lo, exec_lo, s27
	s_delay_alu instid0(SALU_CYCLE_1) | instskip(NEXT) | instid1(SALU_CYCLE_1)
	s_and_b32 s26, exec_lo, s28
	s_or_b32 s22, s26, s22
	s_and_not1_b32 s23, s23, exec_lo
	s_and_b32 s26, s24, exec_lo
	s_delay_alu instid0(SALU_CYCLE_1)
	s_or_b32 s23, s23, s26
	s_and_not1_b32 exec_lo, exec_lo, s22
	s_cbranch_execz .LBB2_113
.LBB2_109:                              ;   Parent Loop BB2_36 Depth=1
                                        ;     Parent Loop BB2_85 Depth=2
                                        ; =>    This Inner Loop Header: Depth=3
	s_add_co_i32 s25, s25, 1
	s_delay_alu instid0(SALU_CYCLE_1) | instskip(SKIP_1) | instid1(SALU_CYCLE_1)
	s_cmp_lg_u32 s25, 0x2710
	s_cselect_b32 s26, -1, 0
	s_and_b32 vcc_lo, exec_lo, s26
	s_cbranch_vccz .LBB2_111
; %bb.110:                              ;   in Loop: Header=BB2_109 Depth=3
	s_mov_b32 s28, -1
	s_or_b32 s24, s24, exec_lo
	s_and_saveexec_b32 s27, s26
	s_cbranch_execz .LBB2_108
	s_branch .LBB2_112
.LBB2_111:                              ;   in Loop: Header=BB2_109 Depth=3
	s_trap 2
	ds_load_b64 v[2:3], v0
	s_and_not1_b32 s26, s26, exec_lo
	s_mov_b32 s25, 0
	s_wait_loadcnt_dscnt 0x0
	flat_load_b32 v2, v[2:3] scope:SCOPE_SYS
	s_wait_loadcnt_dscnt 0x0
	global_inv scope:SCOPE_SYS
	v_cmp_eq_u32_e32 vcc_lo, 0, v2
	s_and_b32 s27, vcc_lo, exec_lo
	s_delay_alu instid0(SALU_CYCLE_1)
	s_or_b32 s26, s26, s27
	s_mov_b32 s28, -1
	s_or_b32 s24, s24, exec_lo
	s_and_saveexec_b32 s27, s26
	s_cbranch_execz .LBB2_108
.LBB2_112:                              ;   in Loop: Header=BB2_109 Depth=3
	s_sleep 1
	s_trap 2
	ds_load_b64 v[2:3], v0
	s_wait_dscnt 0x0
	s_and_not1_b32 s24, s24, exec_lo
	v_cmp_ge_u64_e32 vcc_lo, v[2:3], v[52:53]
	s_or_not1_b32 s28, vcc_lo, exec_lo
	s_branch .LBB2_108
.LBB2_113:                              ;   in Loop: Header=BB2_85 Depth=2
	s_or_b32 exec_lo, exec_lo, s22
	s_and_saveexec_b32 s22, s23
	s_delay_alu instid0(SALU_CYCLE_1)
	s_xor_b32 s22, exec_lo, s22
	s_cbranch_execz .LBB2_115
; %bb.114:                              ;   in Loop: Header=BB2_85 Depth=2
	ds_store_b32 v0, v1
	s_trap 2
.LBB2_115:                              ;   in Loop: Header=BB2_85 Depth=2
	s_or_b32 exec_lo, exec_lo, s21
	;;#ASMSTART
	s_wakeup
	;;#ASMEND
.LBB2_116:                              ;   in Loop: Header=BB2_85 Depth=2
	s_or_b32 exec_lo, exec_lo, s20
.LBB2_117:                              ;   in Loop: Header=BB2_85 Depth=2
	s_and_not1_saveexec_b32 s19, s19
	s_cbranch_execz .LBB2_119
; %bb.118:                              ;   in Loop: Header=BB2_85 Depth=2
	global_wb scope:SCOPE_DEV
	s_wait_storecnt 0x0
	s_wait_loadcnt_dscnt 0x0
	global_inv scope:SCOPE_DEV
	s_barrier_signal -1
	s_barrier_wait -1
.LBB2_119:                              ;   in Loop: Header=BB2_85 Depth=2
	s_or_b32 exec_lo, exec_lo, s19
.LBB2_120:                              ;   in Loop: Header=BB2_85 Depth=2
	s_delay_alu instid0(SALU_CYCLE_1)
	s_or_b32 exec_lo, exec_lo, s8
	v_dual_mov_b32 v118, v0 :: v_dual_add_nc_u32 v3, 1, v114
	s_and_saveexec_b32 s19, s7
	s_cbranch_execnz .LBB2_127
; %bb.121:                              ;   in Loop: Header=BB2_85 Depth=2
	s_or_b32 exec_lo, exec_lo, s19
	s_and_saveexec_b32 s8, s3
	s_cbranch_execnz .LBB2_466
.LBB2_122:                              ;   in Loop: Header=BB2_85 Depth=2
	s_or_b32 exec_lo, exec_lo, s8
	s_and_saveexec_b32 s8, s6
	s_cbranch_execz .LBB2_124
.LBB2_123:                              ;   in Loop: Header=BB2_85 Depth=2
	v_add_nc_u64_e32 v[38:39], 1, v[38:39]
	global_wb scope:SCOPE_SYS
	s_wait_storecnt 0x0
	s_wait_loadcnt_dscnt 0x0
	flat_store_b64 v[48:49], v[38:39] scope:SCOPE_SYS
.LBB2_124:                              ;   in Loop: Header=BB2_85 Depth=2
	s_wait_xcnt 0x0
	s_or_b32 exec_lo, exec_lo, s8
	v_and_b32_e32 v54, 0x7ffffff8, v114
	v_cmp_gt_i32_e64 s8, s15, v118
	s_delay_alu instid0(VALU_DEP_2) | instskip(SKIP_1) | instid1(SALU_CYCLE_1)
	v_cmp_eq_u64_e32 vcc_lo, 0x7ffffff8, v[54:55]
	s_and_b32 s19, vcc_lo, s8
	s_and_saveexec_b32 s8, s19
	s_cbranch_execz .LBB2_84
; %bb.125:                              ;   in Loop: Header=BB2_85 Depth=2
	v_dual_ashrrev_i32 v119, 31, v118 :: v_dual_bitop2_b32 v2, 7, v61 bitop3:0x40
	s_mov_b32 s19, 0
	s_wait_loadcnt_dscnt 0x0
	s_delay_alu instid0(VALU_DEP_1) | instskip(NEXT) | instid1(VALU_DEP_1)
	v_mul_lo_u32 v4, s15, v2
	v_dual_mov_b32 v2, v55 :: v_dual_ashrrev_i32 v5, 31, v4
	s_delay_alu instid0(VALU_DEP_1) | instskip(NEXT) | instid1(VALU_DEP_1)
	v_lshlrev_b64_e32 v[4:5], 4, v[4:5]
	v_lshl_add_u64 v[4:5], v[118:119], 4, v[4:5]
	s_delay_alu instid0(VALU_DEP_1)
	v_add_nc_u64_e32 v[16:17], v[36:37], v[4:5]
.LBB2_126:                              ;   Parent Loop BB2_36 Depth=1
                                        ;     Parent Loop BB2_85 Depth=2
                                        ; =>    This Inner Loop Header: Depth=3
	s_delay_alu instid0(VALU_DEP_4)
	v_dual_mov_b32 v4, v2 :: v_dual_mov_b32 v5, v3
	v_add_nc_u32_e32 v118, v118, v20
	global_store_b128 v[16:17], v[2:5], off
	v_cmp_le_i32_e32 vcc_lo, s15, v118
	s_wait_xcnt 0x0
	v_add_nc_u64_e32 v[16:17], v[16:17], v[102:103]
	s_or_b32 s19, vcc_lo, s19
	s_delay_alu instid0(SALU_CYCLE_1)
	s_and_not1_b32 exec_lo, exec_lo, s19
	s_cbranch_execnz .LBB2_126
	s_branch .LBB2_84
.LBB2_127:                              ;   in Loop: Header=BB2_85 Depth=2
	v_and_b32_e32 v2, 7, v34
	s_wait_loadcnt_dscnt 0x0
	v_mad_nc_u64_u32 v[40:41], v68, v4, v[116:117]
	v_dual_add_nc_u32 v62, 1, v34 :: v_dual_mov_b32 v118, v0
	s_mov_b32 s20, 0
	v_mul_lo_u32 v16, v2, s15
	v_dual_mov_b32 v63, v60 :: v_dual_bitop2_b32 v5, 7, v114 bitop3:0x40
	s_delay_alu instid0(VALU_DEP_4) | instskip(SKIP_1) | instid1(VALU_DEP_4)
	v_mad_u32 v2, v69, v4, v41
	v_ashrrev_i32_e32 v4, 31, v4
	v_ashrrev_i32_e32 v17, 31, v16
	s_delay_alu instid0(VALU_DEP_4) | instskip(NEXT) | instid1(VALU_DEP_2)
	v_mul_lo_u32 v18, v5, s15
	v_lshl_add_u64 v[42:43], v[16:17], 4, v[32:33]
	s_delay_alu instid0(VALU_DEP_4) | instskip(NEXT) | instid1(VALU_DEP_3)
	v_mad_u32 v41, v68, v4, v2
	v_ashrrev_i32_e32 v19, 31, v18
	s_delay_alu instid0(VALU_DEP_1)
	v_lshl_add_u64 v[44:45], v[18:19], 4, v[36:37]
	s_branch .LBB2_130
.LBB2_128:                              ;   in Loop: Header=BB2_130 Depth=3
	s_or_b32 exec_lo, exec_lo, s21
.LBB2_129:                              ;   in Loop: Header=BB2_130 Depth=3
	s_delay_alu instid0(SALU_CYCLE_1) | instskip(SKIP_4) | instid1(VALU_DEP_4)
	s_or_b32 exec_lo, exec_lo, s8
	v_dual_lshlrev_b32 v2, 8, v73 :: v_dual_lshlrev_b32 v5, 16, v46
	v_dual_lshlrev_b32 v16, 8, v74 :: v_dual_lshlrev_b32 v17, 16, v75
	v_dual_sub_nc_u32 v63, v63, v86 :: v_dual_lshlrev_b32 v18, 24, v47
	v_lshlrev_b32_e32 v4, 24, v4
	v_or3_b32 v2, v2, v72, v5
	s_delay_alu instid0(VALU_DEP_4)
	v_or3_b32 v5, v16, v19, v17
	v_add_nc_u64_e32 v[40:41], v[40:41], v[86:87]
	v_lshl_add_u64 v[16:17], v[118:119], 4, v[44:45]
	v_add_nc_u32_e32 v118, v118, v20
	v_cmp_gt_i32_e32 vcc_lo, 1, v63
	v_or3_b32 v2, v2, v18, 0
	v_or3_b32 v4, v5, v4, 0
	v_mov_b32_e32 v5, v3
	s_or_b32 s20, vcc_lo, s20
	global_store_b128 v[16:17], v[2:5], off
	s_wait_xcnt 0x0
	s_and_not1_b32 exec_lo, exec_lo, s20
	s_cbranch_execz .LBB2_465
.LBB2_130:                              ;   Parent Loop BB2_36 Depth=1
                                        ;     Parent Loop BB2_85 Depth=2
                                        ; =>    This Loop Header: Depth=3
                                        ;         Child Loop BB2_138 Depth 4
	s_delay_alu instid0(VALU_DEP_3)
	v_dual_mov_b32 v5, v41 :: v_dual_bitop2_b32 v4, -4, v40 bitop3:0x40
	v_min_u32_e32 v16, 8, v63
	v_dual_mov_b32 v74, 0 :: v_dual_bitop2_b32 v17, 3, v40 bitop3:0x40
	v_mov_b32_e32 v75, 0
	global_load_b32 v2, v[4:5], off th:TH_LOAD_NT
	s_mov_b32 s8, exec_lo
	v_add_nc_u32_e32 v54, v17, v16
	s_wait_xcnt 0x0
	s_delay_alu instid0(VALU_DEP_1)
	v_cmpx_lt_u32_e32 4, v54
	s_cbranch_execz .LBB2_132
; %bb.131:                              ;   in Loop: Header=BB2_130 Depth=3
	global_load_b32 v75, v[4:5], off offset:4 th:TH_LOAD_NT
.LBB2_132:                              ;   in Loop: Header=BB2_130 Depth=3
	s_wait_xcnt 0x0
	s_or_b32 exec_lo, exec_lo, s8
	s_delay_alu instid0(SALU_CYCLE_1)
	s_mov_b32 s8, exec_lo
	v_cmpx_lt_u64_e32 8, v[54:55]
	s_cbranch_execz .LBB2_134
; %bb.133:                              ;   in Loop: Header=BB2_130 Depth=3
	global_load_b32 v74, v[4:5], off offset:8 th:TH_LOAD_NT
.LBB2_134:                              ;   in Loop: Header=BB2_130 Depth=3
	s_wait_xcnt 0x0
	s_or_b32 exec_lo, exec_lo, s8
	v_ashrrev_i32_e32 v119, 31, v118
	s_mov_b32 s21, exec_lo
	s_delay_alu instid0(VALU_DEP_1)
	v_lshl_add_u64 v[4:5], v[118:119], 4, v[42:43]
	global_load_b128 v[16:19], v[4:5], off th:TH_LOAD_NT
	s_wait_xcnt 0x0
	v_cmpx_eq_u32_e32 0, v59
	s_cbranch_execz .LBB2_146
; %bb.135:                              ;   in Loop: Header=BB2_130 Depth=3
	s_wait_loadcnt 0x0
	v_cmp_ne_u32_e32 vcc_lo, v62, v17
	v_cmp_ne_u32_e64 s8, v62, v19
	v_mov_b32_e32 v59, 0
	s_or_b32 s8, vcc_lo, s8
	s_delay_alu instid0(SALU_CYCLE_1)
	s_and_saveexec_b32 s22, s8
	s_cbranch_execz .LBB2_145
; %bb.136:                              ;   in Loop: Header=BB2_130 Depth=3
	s_mov_b32 s26, 1
	s_mov_b32 s24, 0
                                        ; implicit-def: $sgpr23
                                        ; implicit-def: $sgpr25
	s_branch .LBB2_138
.LBB2_137:                              ;   in Loop: Header=BB2_138 Depth=4
	s_or_b32 exec_lo, exec_lo, s28
	s_delay_alu instid0(SALU_CYCLE_1) | instskip(NEXT) | instid1(SALU_CYCLE_1)
	s_and_b32 s8, exec_lo, s8
	s_or_b32 s24, s8, s24
	s_and_not1_b32 s8, s23, exec_lo
	s_and_b32 s23, s25, exec_lo
	s_delay_alu instid0(SALU_CYCLE_1)
	s_or_b32 s23, s8, s23
	s_and_not1_b32 exec_lo, exec_lo, s24
	s_cbranch_execz .LBB2_142
.LBB2_138:                              ;   Parent Loop BB2_36 Depth=1
                                        ;     Parent Loop BB2_85 Depth=2
                                        ;       Parent Loop BB2_130 Depth=3
                                        ; =>      This Inner Loop Header: Depth=4
	s_wait_loadcnt 0x0
	global_load_b128 v[16:19], v[4:5], off th:TH_LOAD_NT
	s_add_co_i32 s26, s26, 1
	s_mov_b32 s8, -1
	s_cmp_lg_u32 s26, 0x2710
	s_mov_b32 s27, -1
                                        ; implicit-def: $vgpr54
	s_cbranch_scc0 .LBB2_140
; %bb.139:                              ;   in Loop: Header=BB2_138 Depth=4
	s_or_b32 s25, s25, exec_lo
	s_wait_xcnt 0x0
	s_and_saveexec_b32 s28, s27
	s_cbranch_execz .LBB2_137
	s_branch .LBB2_141
.LBB2_140:                              ;   in Loop: Header=BB2_138 Depth=4
	s_trap 2
	ds_load_b64 v[46:47], v0
	s_mov_b32 s26, 0
	s_wait_storecnt 0x0
	s_wait_loadcnt_dscnt 0x0
	flat_load_b32 v54, v[46:47] scope:SCOPE_SYS
	s_wait_loadcnt_dscnt 0x0
	global_inv scope:SCOPE_SYS
	v_cmp_eq_u32_e32 vcc_lo, 0, v54
	s_or_not1_b32 s27, vcc_lo, exec_lo
	s_or_b32 s25, s25, exec_lo
	s_wait_xcnt 0x0
	s_and_saveexec_b32 s28, s27
	s_cbranch_execz .LBB2_137
.LBB2_141:                              ;   in Loop: Header=BB2_138 Depth=4
	s_wait_loadcnt 0x0
	v_cmp_eq_u32_e32 vcc_lo, v62, v17
	v_cmp_eq_u32_e64 s8, v62, v19
	s_and_not1_b32 s25, s25, exec_lo
	s_and_b32 s8, vcc_lo, s8
	s_delay_alu instid0(SALU_CYCLE_1)
	s_or_not1_b32 s8, s8, exec_lo
	s_branch .LBB2_137
.LBB2_142:                              ;   in Loop: Header=BB2_130 Depth=3
	s_or_b32 exec_lo, exec_lo, s24
	v_mov_b32_e32 v59, 0
	s_and_saveexec_b32 s8, s23
	s_delay_alu instid0(SALU_CYCLE_1)
	s_xor_b32 s8, exec_lo, s8
	s_cbranch_execz .LBB2_144
; %bb.143:                              ;   in Loop: Header=BB2_130 Depth=3
	v_mov_b32_e32 v59, 1
	s_wait_loadcnt 0x0
	s_wait_storecnt 0x0
	ds_store_b32 v0, v54
	s_trap 2
.LBB2_144:                              ;   in Loop: Header=BB2_130 Depth=3
	s_or_b32 exec_lo, exec_lo, s8
.LBB2_145:                              ;   in Loop: Header=BB2_130 Depth=3
	s_delay_alu instid0(SALU_CYCLE_1)
	s_or_b32 exec_lo, exec_lo, s22
.LBB2_146:                              ;   in Loop: Header=BB2_130 Depth=3
	s_delay_alu instid0(SALU_CYCLE_1) | instskip(SKIP_3) | instid1(VALU_DEP_2)
	s_or_b32 exec_lo, exec_lo, s21
	s_wait_loadcnt 0x0
	v_and_b32_e32 v5, 0xff, v16
	v_mov_b32_e32 v4, 0
	v_cmp_ne_u16_e32 vcc_lo, 0, v5
	v_mov_b32_e32 v5, 0
	s_and_saveexec_b32 s8, vcc_lo
	s_cbranch_execz .LBB2_156
; %bb.147:                              ;   in Loop: Header=BB2_130 Depth=3
	v_bfe_i32 v46, v16, 0, 8
	v_bfrev_b32_e32 v5, 1
	s_mov_b32 s21, exec_lo
	s_delay_alu instid0(VALU_DEP_2)
	v_cmpx_ne_u16_e32 0xff80, v46
	s_cbranch_execz .LBB2_155
; %bb.148:                              ;   in Loop: Header=BB2_130 Depth=3
	v_and_b32_e32 v5, 0x7c, v16
	v_and_b32_e32 v54, 3, v16
	s_delay_alu instid0(VALU_DEP_2) | instskip(SKIP_1) | instid1(SALU_CYCLE_1)
	v_cmp_ne_u32_e32 vcc_lo, 0x7c, v5
                                        ; implicit-def: $vgpr5
	s_and_saveexec_b32 s22, vcc_lo
	s_xor_b32 s22, exec_lo, s22
	s_cbranch_execz .LBB2_152
; %bb.149:                              ;   in Loop: Header=BB2_130 Depth=3
	v_bfe_u32 v5, v16, 2, 5
	s_mov_b32 s23, exec_lo
	s_delay_alu instid0(VALU_DEP_1)
	v_cmpx_eq_u32_e32 0, v5
; %bb.150:                              ;   in Loop: Header=BB2_130 Depth=3
	v_clz_i32_u32_e32 v5, v54
	s_delay_alu instid0(VALU_DEP_1) | instskip(NEXT) | instid1(VALU_DEP_1)
	v_min_u32_e32 v5, 32, v5
	v_subrev_nc_u32_e32 v54, 29, v5
	s_delay_alu instid0(VALU_DEP_1) | instskip(NEXT) | instid1(VALU_DEP_1)
	v_lshlrev_b64_e32 v[46:47], v54, v[16:17]
	v_dual_sub_nc_u32 v5, 30, v5 :: v_dual_bitop2_b32 v54, 3, v46 bitop3:0x40
; %bb.151:                              ;   in Loop: Header=BB2_130 Depth=3
	s_or_b32 exec_lo, exec_lo, s23
	v_lshlrev_b32_e32 v17, 24, v16
                                        ; implicit-def: $vgpr46
	s_delay_alu instid0(VALU_DEP_1) | instskip(NEXT) | instid1(VALU_DEP_1)
	v_and_b32_e32 v17, 0x80000000, v17
	v_lshl_add_u32 v5, v5, 23, v17
	s_delay_alu instid0(VALU_DEP_1) | instskip(NEXT) | instid1(VALU_DEP_1)
	v_lshl_or_b32 v5, v54, 21, v5
                                        ; implicit-def: $vgpr54
	v_add_nc_u32_e32 v5, 0x38000000, v5
.LBB2_152:                              ;   in Loop: Header=BB2_130 Depth=3
	s_and_not1_saveexec_b32 s22, s22
; %bb.153:                              ;   in Loop: Header=BB2_130 Depth=3
	v_cmp_lt_i16_e32 vcc_lo, -1, v46
	v_cndmask_b32_e32 v5, 0xff800000, v21, vcc_lo
	v_cmp_eq_u32_e32 vcc_lo, 0, v54
	s_delay_alu instid0(VALU_DEP_2)
	v_cndmask_b32_e32 v5, 0x7f800001, v5, vcc_lo
; %bb.154:                              ;   in Loop: Header=BB2_130 Depth=3
	s_or_b32 exec_lo, exec_lo, s22
.LBB2_155:                              ;   in Loop: Header=BB2_130 Depth=3
	s_delay_alu instid0(SALU_CYCLE_1)
	s_or_b32 exec_lo, exec_lo, s21
.LBB2_156:                              ;   in Loop: Header=BB2_130 Depth=3
	s_delay_alu instid0(SALU_CYCLE_1) | instskip(SKIP_2) | instid1(VALU_DEP_1)
	s_or_b32 exec_lo, exec_lo, s8
	v_lshlrev_b32_e32 v76, 3, v40
	s_mov_b32 s8, exec_lo
	v_alignbit_b32 v54, v75, v2, v76
	s_delay_alu instid0(VALU_DEP_1) | instskip(NEXT) | instid1(VALU_DEP_1)
	v_and_b32_e32 v2, 0xff, v54
	v_cmpx_ne_u16_e32 0, v2
	s_cbranch_execz .LBB2_166
; %bb.157:                              ;   in Loop: Header=BB2_130 Depth=3
	v_bfe_i32 v17, v54, 0, 8
	v_bfrev_b32_e32 v4, 1
	s_mov_b32 s21, exec_lo
	s_delay_alu instid0(VALU_DEP_2)
	v_cmpx_ne_u16_e32 0xff80, v17
	s_cbranch_execz .LBB2_165
; %bb.158:                              ;   in Loop: Header=BB2_130 Depth=3
	v_and_b32_e32 v4, 0x7c, v54
	v_and_b32_e32 v2, 3, v54
	s_delay_alu instid0(VALU_DEP_2) | instskip(SKIP_1) | instid1(SALU_CYCLE_1)
	v_cmp_ne_u32_e32 vcc_lo, 0x7c, v4
                                        ; implicit-def: $vgpr4
	s_and_saveexec_b32 s22, vcc_lo
	s_xor_b32 s22, exec_lo, s22
	s_cbranch_execz .LBB2_162
; %bb.159:                              ;   in Loop: Header=BB2_130 Depth=3
	v_bfe_u32 v4, v54, 2, 5
	s_mov_b32 s23, exec_lo
	s_delay_alu instid0(VALU_DEP_1)
	v_cmpx_eq_u32_e32 0, v4
; %bb.160:                              ;   in Loop: Header=BB2_130 Depth=3
	v_clz_i32_u32_e32 v2, v2
	s_delay_alu instid0(VALU_DEP_1) | instskip(NEXT) | instid1(VALU_DEP_1)
	v_min_u32_e32 v2, 32, v2
	v_subrev_nc_u32_e32 v4, 29, v2
	s_delay_alu instid0(VALU_DEP_1) | instskip(SKIP_1) | instid1(VALU_DEP_2)
	v_lshlrev_b64_e32 v[46:47], v4, v[54:55]
	v_sub_nc_u32_e32 v4, 30, v2
	v_and_b32_e32 v2, 3, v46
; %bb.161:                              ;   in Loop: Header=BB2_130 Depth=3
	s_or_b32 exec_lo, exec_lo, s23
	v_lshlrev_b32_e32 v17, 24, v54
	s_delay_alu instid0(VALU_DEP_1) | instskip(NEXT) | instid1(VALU_DEP_1)
	v_and_b32_e32 v17, 0x80000000, v17
	v_lshl_add_u32 v4, v4, 23, v17
                                        ; implicit-def: $vgpr17
	s_delay_alu instid0(VALU_DEP_1) | instskip(NEXT) | instid1(VALU_DEP_1)
	v_lshl_or_b32 v2, v2, 21, v4
	v_add_nc_u32_e32 v4, 0x38000000, v2
                                        ; implicit-def: $vgpr2
.LBB2_162:                              ;   in Loop: Header=BB2_130 Depth=3
	s_and_not1_saveexec_b32 s22, s22
; %bb.163:                              ;   in Loop: Header=BB2_130 Depth=3
	v_cmp_lt_i16_e32 vcc_lo, -1, v17
	v_cndmask_b32_e32 v4, 0xff800000, v21, vcc_lo
	v_cmp_eq_u32_e32 vcc_lo, 0, v2
	s_delay_alu instid0(VALU_DEP_2)
	v_cndmask_b32_e32 v4, 0x7f800001, v4, vcc_lo
; %bb.164:                              ;   in Loop: Header=BB2_130 Depth=3
	s_or_b32 exec_lo, exec_lo, s22
.LBB2_165:                              ;   in Loop: Header=BB2_130 Depth=3
	s_delay_alu instid0(SALU_CYCLE_1)
	s_or_b32 exec_lo, exec_lo, s21
.LBB2_166:                              ;   in Loop: Header=BB2_130 Depth=3
	s_delay_alu instid0(SALU_CYCLE_1) | instskip(NEXT) | instid1(VALU_DEP_1)
	s_or_b32 exec_lo, exec_lo, s8
	v_dual_mul_f32 v17, v5, v4 :: v_dual_mov_b32 v47, v55
	v_mov_b32_e32 v5, v55
                                        ; implicit-def: $vgpr72
	s_mov_b32 s8, exec_lo
	s_delay_alu instid0(VALU_DEP_2) | instskip(SKIP_2) | instid1(VALU_DEP_3)
	v_and_b32_e32 v46, 0x7f800000, v17
	v_and_b32_e32 v4, 0x7fffff, v17
	v_lshrrev_b32_e32 v2, 24, v17
	v_cmpx_ne_u64_e32 0x7f800000, v[46:47]
	s_xor_b32 s21, exec_lo, s8
	s_cbranch_execz .LBB2_180
; %bb.167:                              ;   in Loop: Header=BB2_130 Depth=3
	v_and_b32_e32 v46, 0x7fffffff, v17
	v_mov_b32_e32 v47, v55
	v_and_b32_e32 v2, 0x80, v2
                                        ; implicit-def: $vgpr72
	s_mov_b32 s8, exec_lo
	s_delay_alu instid0(VALU_DEP_2)
	v_cmpx_gt_u64_e32 0x47600001, v[46:47]
	s_xor_b32 s22, exec_lo, s8
	s_cbranch_execz .LBB2_177
; %bb.168:                              ;   in Loop: Header=BB2_130 Depth=3
	v_mov_b32_e32 v72, 0
	s_mov_b32 s23, exec_lo
	v_cmpx_ne_u32_e32 0, v17
	s_cbranch_execz .LBB2_176
; %bb.169:                              ;   in Loop: Header=BB2_130 Depth=3
	v_bfe_u32 v17, v17, 23, 8
	v_or_b32_e32 v73, 0x800000, v4
	s_delay_alu instid0(VALU_DEP_2) | instskip(SKIP_1) | instid1(VALU_DEP_2)
	v_sub_nc_u32_e32 v46, 0x71, v17
	v_cmp_gt_u32_e32 vcc_lo, 0x72, v17
	v_cndmask_b32_e32 v46, 0, v46, vcc_lo
	v_cmp_eq_u32_e32 vcc_lo, 0, v17
	s_delay_alu instid0(VALU_DEP_2) | instskip(SKIP_1) | instid1(VALU_DEP_2)
	v_cndmask_b32_e64 v72, v46, 0x70, vcc_lo
	v_cndmask_b32_e32 v4, v73, v4, vcc_lo
	v_dual_add_nc_u32 v46, 21, v72 :: v_dual_add_nc_u32 v77, 20, v72
	s_delay_alu instid0(VALU_DEP_1) | instskip(NEXT) | instid1(VALU_DEP_2)
	v_lshlrev_b64_e64 v[46:47], v46, -1
	v_lshlrev_b64_e64 v[78:79], v77, 1
	s_delay_alu instid0(VALU_DEP_2) | instskip(SKIP_1) | instid1(VALU_DEP_4)
	v_bfi_b32 v46, v46, 0, v4
	v_lshrrev_b64 v[4:5], v72, v[4:5]
	v_bfi_b32 v47, v47, 0, 0
	s_delay_alu instid0(VALU_DEP_1) | instskip(NEXT) | instid1(VALU_DEP_3)
	v_cmp_eq_u64_e64 s8, v[46:47], v[78:79]
	v_mov_b64_e32 v[46:47], v[4:5]
	s_and_saveexec_b32 s24, s8
; %bb.170:                              ;   in Loop: Header=BB2_130 Depth=3
	v_bfe_u32 v46, v4, 21, 1
	v_mov_b32_e32 v47, v55
	s_delay_alu instid0(VALU_DEP_1) | instskip(NEXT) | instid1(VALU_DEP_1)
	v_add_nc_u64_e32 v[46:47], v[4:5], v[46:47]
	v_add_nc_u64_e32 v[46:47], -1, v[46:47]
; %bb.171:                              ;   in Loop: Header=BB2_130 Depth=3
	s_or_b32 exec_lo, exec_lo, s24
	v_add_nc_u32_e32 v5, 0xffffff81, v17
	v_lshrrev_b32_e32 v17, 23, v4
	s_mov_b32 s8, exec_lo
	s_delay_alu instid0(VALU_DEP_2) | instskip(NEXT) | instid1(VALU_DEP_1)
	v_cndmask_b32_e64 v5, v5, 0xffffff82, vcc_lo
	v_add3_u32 v47, v72, v5, v17
	v_and_b32_e32 v5, 0x1fffff, v46
                                        ; implicit-def: $vgpr17
	s_delay_alu instid0(VALU_DEP_1) | instskip(SKIP_1) | instid1(VALU_DEP_2)
	v_dual_add_nc_u32 v46, 14, v47 :: v_dual_add_nc_u32 v4, v5, v4
	v_mov_b32_e32 v5, v55
	v_cmpx_ne_u32_e32 0, v46
	s_xor_b32 s8, exec_lo, s8
; %bb.172:                              ;   in Loop: Header=BB2_130 Depth=3
	s_delay_alu instid0(VALU_DEP_2) | instskip(SKIP_1) | instid1(VALU_DEP_1)
	v_cmp_lt_u64_e32 vcc_lo, 0xffffff, v[4:5]
	v_add_nc_u32_e32 v17, 15, v47
	v_cndmask_b32_e32 v17, v46, v17, vcc_lo
	v_cndmask_b32_e64 v46, 0, 1, vcc_lo
	s_delay_alu instid0(VALU_DEP_1)
	v_lshrrev_b64 v[4:5], v46, v[4:5]
; %bb.173:                              ;   in Loop: Header=BB2_130 Depth=3
	s_and_not1_saveexec_b32 s8, s8
; %bb.174:                              ;   in Loop: Header=BB2_130 Depth=3
	s_delay_alu instid0(VALU_DEP_1)
	v_bfe_u32 v17, v4, 23, 1
; %bb.175:                              ;   in Loop: Header=BB2_130 Depth=3
	s_or_b32 exec_lo, exec_lo, s8
	s_delay_alu instid0(VALU_DEP_2) | instskip(NEXT) | instid1(VALU_DEP_2)
	v_lshrrev_b64 v[4:5], 21, v[4:5]
	v_cmp_gt_i32_e32 vcc_lo, 32, v17
	v_min_i32_e32 v46, 31, v17
	v_cmp_eq_u32_e64 s8, 0, v17
	s_delay_alu instid0(VALU_DEP_2) | instskip(SKIP_1) | instid1(VALU_DEP_2)
	v_dual_cndmask_b32 v4, 3, v4, vcc_lo :: v_dual_lshlrev_b32 v46, 2, v46
	v_cndmask_b32_e32 v5, 0, v5, vcc_lo
	v_and_b32_e32 v46, 0xfc, v46
	s_delay_alu instid0(VALU_DEP_2) | instskip(NEXT) | instid1(VALU_DEP_2)
	v_cmp_eq_u64_e32 vcc_lo, 0, v[4:5]
	v_and_or_b32 v4, v4, 3, v46
	s_and_b32 s8, s8, vcc_lo
	s_delay_alu instid0(VALU_DEP_1) | instid1(SALU_CYCLE_1)
	v_cndmask_b32_e64 v4, v4, 0, s8
	s_delay_alu instid0(VALU_DEP_1)
	v_or_b32_e32 v72, v4, v2
.LBB2_176:                              ;   in Loop: Header=BB2_130 Depth=3
	s_or_b32 exec_lo, exec_lo, s23
                                        ; implicit-def: $vgpr2
.LBB2_177:                              ;   in Loop: Header=BB2_130 Depth=3
	s_and_not1_saveexec_b32 s8, s22
; %bb.178:                              ;   in Loop: Header=BB2_130 Depth=3
	v_or_b32_e32 v72, 0x7b, v2
; %bb.179:                              ;   in Loop: Header=BB2_130 Depth=3
	s_or_b32 exec_lo, exec_lo, s8
                                        ; implicit-def: $vgpr17
                                        ; implicit-def: $vgpr4_vgpr5
                                        ; implicit-def: $vgpr2
.LBB2_180:                              ;   in Loop: Header=BB2_130 Depth=3
	s_and_not1_saveexec_b32 s8, s21
	s_cbranch_execz .LBB2_186
; %bb.181:                              ;   in Loop: Header=BB2_130 Depth=3
	s_mov_b32 s21, exec_lo
                                        ; implicit-def: $vgpr72
	v_cmpx_ne_u64_e32 0, v[4:5]
	s_xor_b32 s21, exec_lo, s21
; %bb.182:                              ;   in Loop: Header=BB2_130 Depth=3
	v_or_b32_e32 v72, 0x7f, v2
                                        ; implicit-def: $vgpr17
; %bb.183:                              ;   in Loop: Header=BB2_130 Depth=3
	s_and_not1_saveexec_b32 s21, s21
; %bb.184:                              ;   in Loop: Header=BB2_130 Depth=3
	v_cmp_lt_i32_e32 vcc_lo, -1, v17
	v_cndmask_b32_e32 v72, 0xfc, v58, vcc_lo
; %bb.185:                              ;   in Loop: Header=BB2_130 Depth=3
	s_or_b32 exec_lo, exec_lo, s21
.LBB2_186:                              ;   in Loop: Header=BB2_130 Depth=3
	s_delay_alu instid0(SALU_CYCLE_1) | instskip(SKIP_3) | instid1(VALU_DEP_2)
	s_or_b32 exec_lo, exec_lo, s8
	v_lshrrev_b16 v4, 8, v16
	v_dual_mov_b32 v2, 0 :: v_dual_mov_b32 v17, 0
	s_mov_b32 s8, exec_lo
	v_cmpx_ne_u16_e32 0, v4
	s_cbranch_execz .LBB2_196
; %bb.187:                              ;   in Loop: Header=BB2_130 Depth=3
	v_bfrev_b32_e32 v17, 1
	s_mov_b32 s21, exec_lo
	v_cmpx_ne_u16_e32 0x80, v4
	s_cbranch_execz .LBB2_195
; %bb.188:                              ;   in Loop: Header=BB2_130 Depth=3
	v_and_b32_e32 v46, 0xffff, v4
	s_delay_alu instid0(VALU_DEP_1) | instskip(SKIP_1) | instid1(VALU_DEP_2)
	v_and_b32_e32 v17, 0x7c, v46
	v_and_b32_e32 v5, 3, v46
	v_cmp_ne_u32_e32 vcc_lo, 0x7c, v17
                                        ; implicit-def: $vgpr17
	s_and_saveexec_b32 s22, vcc_lo
	s_delay_alu instid0(SALU_CYCLE_1)
	s_xor_b32 s22, exec_lo, s22
	s_cbranch_execz .LBB2_192
; %bb.189:                              ;   in Loop: Header=BB2_130 Depth=3
	v_bfe_u32 v17, v46, 2, 5
	s_mov_b32 s23, exec_lo
	s_delay_alu instid0(VALU_DEP_1)
	v_cmpx_eq_u32_e32 0, v17
	s_cbranch_execz .LBB2_191
; %bb.190:                              ;   in Loop: Header=BB2_130 Depth=3
	v_clz_i32_u32_e32 v5, v5
	s_delay_alu instid0(VALU_DEP_1) | instskip(SKIP_1) | instid1(VALU_DEP_2)
	v_min_u32_e32 v17, 32, v5
	v_mov_b32_e32 v5, v55
	v_subrev_nc_u32_e32 v46, 29, v17
	v_sub_nc_u32_e32 v17, 30, v17
	s_delay_alu instid0(VALU_DEP_2) | instskip(NEXT) | instid1(VALU_DEP_1)
	v_lshlrev_b64_e32 v[4:5], v46, v[4:5]
	v_and_b32_e32 v5, 3, v4
.LBB2_191:                              ;   in Loop: Header=BB2_130 Depth=3
	s_or_b32 exec_lo, exec_lo, s23
	v_lshlrev_b32_e32 v4, 16, v16
	s_delay_alu instid0(VALU_DEP_1) | instskip(NEXT) | instid1(VALU_DEP_1)
	v_and_b32_e32 v4, 0x80000000, v4
	v_lshl_add_u32 v4, v17, 23, v4
	s_delay_alu instid0(VALU_DEP_1) | instskip(NEXT) | instid1(VALU_DEP_1)
	v_lshl_or_b32 v4, v5, 21, v4
                                        ; implicit-def: $vgpr5
	v_add_nc_u32_e32 v17, 0x38000000, v4
.LBB2_192:                              ;   in Loop: Header=BB2_130 Depth=3
	s_and_not1_saveexec_b32 s22, s22
; %bb.193:                              ;   in Loop: Header=BB2_130 Depth=3
	v_cmp_lt_i16_e32 vcc_lo, -1, v16
	v_cndmask_b32_e32 v4, 0xff800000, v21, vcc_lo
	v_cmp_eq_u32_e32 vcc_lo, 0, v5
	s_delay_alu instid0(VALU_DEP_2)
	v_cndmask_b32_e32 v17, 0x7f800001, v4, vcc_lo
; %bb.194:                              ;   in Loop: Header=BB2_130 Depth=3
	s_or_b32 exec_lo, exec_lo, s22
.LBB2_195:                              ;   in Loop: Header=BB2_130 Depth=3
	s_delay_alu instid0(SALU_CYCLE_1)
	s_or_b32 exec_lo, exec_lo, s21
.LBB2_196:                              ;   in Loop: Header=BB2_130 Depth=3
	s_delay_alu instid0(SALU_CYCLE_1) | instskip(SKIP_2) | instid1(VALU_DEP_1)
	s_or_b32 exec_lo, exec_lo, s8
	v_lshrrev_b16 v4, 8, v54
	s_mov_b32 s8, exec_lo
	v_cmpx_ne_u16_e32 0, v4
	s_cbranch_execz .LBB2_206
; %bb.197:                              ;   in Loop: Header=BB2_130 Depth=3
	v_bfrev_b32_e32 v2, 1
	s_mov_b32 s21, exec_lo
	v_cmpx_ne_u16_e32 0x80, v4
	s_cbranch_execz .LBB2_205
; %bb.198:                              ;   in Loop: Header=BB2_130 Depth=3
	v_and_b32_e32 v46, 0xffff, v4
	s_delay_alu instid0(VALU_DEP_1) | instskip(SKIP_1) | instid1(VALU_DEP_2)
	v_and_b32_e32 v2, 0x7c, v46
	v_and_b32_e32 v5, 3, v46
	v_cmp_ne_u32_e32 vcc_lo, 0x7c, v2
                                        ; implicit-def: $vgpr2
	s_and_saveexec_b32 s22, vcc_lo
	s_delay_alu instid0(SALU_CYCLE_1)
	s_xor_b32 s22, exec_lo, s22
	s_cbranch_execz .LBB2_202
; %bb.199:                              ;   in Loop: Header=BB2_130 Depth=3
	v_bfe_u32 v2, v46, 2, 5
	s_mov_b32 s23, exec_lo
	s_delay_alu instid0(VALU_DEP_1)
	v_cmpx_eq_u32_e32 0, v2
	s_cbranch_execz .LBB2_201
; %bb.200:                              ;   in Loop: Header=BB2_130 Depth=3
	v_clz_i32_u32_e32 v2, v5
	s_delay_alu instid0(VALU_DEP_1) | instskip(SKIP_1) | instid1(VALU_DEP_2)
	v_min_u32_e32 v2, 32, v2
	v_mov_b32_e32 v5, v55
	v_subrev_nc_u32_e32 v46, 29, v2
	v_sub_nc_u32_e32 v2, 30, v2
	s_delay_alu instid0(VALU_DEP_2) | instskip(NEXT) | instid1(VALU_DEP_1)
	v_lshlrev_b64_e32 v[4:5], v46, v[4:5]
	v_and_b32_e32 v5, 3, v4
.LBB2_201:                              ;   in Loop: Header=BB2_130 Depth=3
	s_or_b32 exec_lo, exec_lo, s23
	v_lshlrev_b32_e32 v4, 16, v54
	s_delay_alu instid0(VALU_DEP_1) | instskip(NEXT) | instid1(VALU_DEP_1)
	v_and_b32_e32 v4, 0x80000000, v4
	v_lshl_add_u32 v2, v2, 23, v4
	s_delay_alu instid0(VALU_DEP_1) | instskip(NEXT) | instid1(VALU_DEP_1)
	v_lshl_or_b32 v2, v5, 21, v2
                                        ; implicit-def: $vgpr5
	v_add_nc_u32_e32 v2, 0x38000000, v2
.LBB2_202:                              ;   in Loop: Header=BB2_130 Depth=3
	s_and_not1_saveexec_b32 s22, s22
; %bb.203:                              ;   in Loop: Header=BB2_130 Depth=3
	v_cmp_lt_i16_e32 vcc_lo, -1, v54
	v_cndmask_b32_e32 v2, 0xff800000, v21, vcc_lo
	v_cmp_eq_u32_e32 vcc_lo, 0, v5
	s_delay_alu instid0(VALU_DEP_2)
	v_cndmask_b32_e32 v2, 0x7f800001, v2, vcc_lo
; %bb.204:                              ;   in Loop: Header=BB2_130 Depth=3
	s_or_b32 exec_lo, exec_lo, s22
.LBB2_205:                              ;   in Loop: Header=BB2_130 Depth=3
	s_delay_alu instid0(SALU_CYCLE_1)
	s_or_b32 exec_lo, exec_lo, s21
.LBB2_206:                              ;   in Loop: Header=BB2_130 Depth=3
	s_delay_alu instid0(SALU_CYCLE_1) | instskip(NEXT) | instid1(VALU_DEP_1)
	s_or_b32 exec_lo, exec_lo, s8
	v_dual_mul_f32 v17, v17, v2 :: v_dual_mov_b32 v47, v55
	v_mov_b32_e32 v5, v55
                                        ; implicit-def: $vgpr73
	s_mov_b32 s8, exec_lo
	s_delay_alu instid0(VALU_DEP_2) | instskip(SKIP_2) | instid1(VALU_DEP_3)
	v_and_b32_e32 v46, 0x7f800000, v17
	v_and_b32_e32 v4, 0x7fffff, v17
	v_lshrrev_b32_e32 v2, 24, v17
	v_cmpx_ne_u64_e32 0x7f800000, v[46:47]
	s_xor_b32 s21, exec_lo, s8
	s_cbranch_execz .LBB2_220
; %bb.207:                              ;   in Loop: Header=BB2_130 Depth=3
	v_and_b32_e32 v46, 0x7fffffff, v17
	v_mov_b32_e32 v47, v55
	v_and_b32_e32 v2, 0x80, v2
                                        ; implicit-def: $vgpr73
	s_mov_b32 s8, exec_lo
	s_delay_alu instid0(VALU_DEP_2)
	v_cmpx_gt_u64_e32 0x47600001, v[46:47]
	s_xor_b32 s22, exec_lo, s8
	s_cbranch_execz .LBB2_217
; %bb.208:                              ;   in Loop: Header=BB2_130 Depth=3
	v_mov_b32_e32 v73, 0
	s_mov_b32 s23, exec_lo
	v_cmpx_ne_u32_e32 0, v17
	s_cbranch_execz .LBB2_216
; %bb.209:                              ;   in Loop: Header=BB2_130 Depth=3
	v_bfe_u32 v17, v17, 23, 8
	v_or_b32_e32 v77, 0x800000, v4
	s_delay_alu instid0(VALU_DEP_2) | instskip(SKIP_1) | instid1(VALU_DEP_2)
	v_sub_nc_u32_e32 v46, 0x71, v17
	v_cmp_gt_u32_e32 vcc_lo, 0x72, v17
	v_cndmask_b32_e32 v46, 0, v46, vcc_lo
	v_cmp_eq_u32_e32 vcc_lo, 0, v17
	s_delay_alu instid0(VALU_DEP_2) | instskip(NEXT) | instid1(VALU_DEP_1)
	v_cndmask_b32_e64 v73, v46, 0x70, vcc_lo
	v_dual_cndmask_b32 v4, v77, v4, vcc_lo :: v_dual_add_nc_u32 v46, 21, v73
	v_add_nc_u32_e32 v78, 20, v73
	s_delay_alu instid0(VALU_DEP_2) | instskip(NEXT) | instid1(VALU_DEP_2)
	v_lshlrev_b64_e64 v[46:47], v46, -1
	v_lshlrev_b64_e64 v[78:79], v78, 1
	s_delay_alu instid0(VALU_DEP_2) | instskip(SKIP_1) | instid1(VALU_DEP_4)
	v_bfi_b32 v46, v46, 0, v4
	v_lshrrev_b64 v[4:5], v73, v[4:5]
	v_bfi_b32 v47, v47, 0, 0
	s_delay_alu instid0(VALU_DEP_1) | instskip(NEXT) | instid1(VALU_DEP_3)
	v_cmp_eq_u64_e64 s8, v[46:47], v[78:79]
	v_mov_b64_e32 v[46:47], v[4:5]
	s_and_saveexec_b32 s24, s8
; %bb.210:                              ;   in Loop: Header=BB2_130 Depth=3
	v_bfe_u32 v46, v4, 21, 1
	v_mov_b32_e32 v47, v55
	s_delay_alu instid0(VALU_DEP_1) | instskip(NEXT) | instid1(VALU_DEP_1)
	v_add_nc_u64_e32 v[46:47], v[4:5], v[46:47]
	v_add_nc_u64_e32 v[46:47], -1, v[46:47]
; %bb.211:                              ;   in Loop: Header=BB2_130 Depth=3
	s_or_b32 exec_lo, exec_lo, s24
	v_add_nc_u32_e32 v5, 0xffffff81, v17
	v_lshrrev_b32_e32 v17, 23, v4
	s_mov_b32 s8, exec_lo
	s_delay_alu instid0(VALU_DEP_2) | instskip(NEXT) | instid1(VALU_DEP_1)
	v_cndmask_b32_e64 v5, v5, 0xffffff82, vcc_lo
	v_add3_u32 v47, v73, v5, v17
	v_and_b32_e32 v5, 0x1fffff, v46
                                        ; implicit-def: $vgpr17
	s_delay_alu instid0(VALU_DEP_1) | instskip(SKIP_1) | instid1(VALU_DEP_2)
	v_dual_add_nc_u32 v46, 14, v47 :: v_dual_add_nc_u32 v4, v5, v4
	v_mov_b32_e32 v5, v55
	v_cmpx_ne_u32_e32 0, v46
	s_xor_b32 s8, exec_lo, s8
; %bb.212:                              ;   in Loop: Header=BB2_130 Depth=3
	s_delay_alu instid0(VALU_DEP_2) | instskip(SKIP_1) | instid1(VALU_DEP_1)
	v_cmp_lt_u64_e32 vcc_lo, 0xffffff, v[4:5]
	v_add_nc_u32_e32 v17, 15, v47
	v_cndmask_b32_e32 v17, v46, v17, vcc_lo
	v_cndmask_b32_e64 v46, 0, 1, vcc_lo
	s_delay_alu instid0(VALU_DEP_1)
	v_lshrrev_b64 v[4:5], v46, v[4:5]
; %bb.213:                              ;   in Loop: Header=BB2_130 Depth=3
	s_and_not1_saveexec_b32 s8, s8
; %bb.214:                              ;   in Loop: Header=BB2_130 Depth=3
	s_delay_alu instid0(VALU_DEP_1)
	v_bfe_u32 v17, v4, 23, 1
; %bb.215:                              ;   in Loop: Header=BB2_130 Depth=3
	s_or_b32 exec_lo, exec_lo, s8
	s_delay_alu instid0(VALU_DEP_2) | instskip(NEXT) | instid1(VALU_DEP_2)
	v_lshrrev_b64 v[4:5], 21, v[4:5]
	v_cmp_gt_i32_e32 vcc_lo, 32, v17
	v_min_i32_e32 v46, 31, v17
	v_cmp_eq_u32_e64 s8, 0, v17
	s_delay_alu instid0(VALU_DEP_2) | instskip(SKIP_1) | instid1(VALU_DEP_2)
	v_dual_cndmask_b32 v4, 3, v4, vcc_lo :: v_dual_lshlrev_b32 v46, 2, v46
	v_cndmask_b32_e32 v5, 0, v5, vcc_lo
	v_and_b32_e32 v46, 0xfc, v46
	s_delay_alu instid0(VALU_DEP_2) | instskip(NEXT) | instid1(VALU_DEP_2)
	v_cmp_eq_u64_e32 vcc_lo, 0, v[4:5]
	v_and_or_b32 v4, v4, 3, v46
	s_and_b32 s8, s8, vcc_lo
	s_delay_alu instid0(VALU_DEP_1) | instid1(SALU_CYCLE_1)
	v_cndmask_b32_e64 v4, v4, 0, s8
	s_delay_alu instid0(VALU_DEP_1)
	v_or_b32_e32 v73, v4, v2
.LBB2_216:                              ;   in Loop: Header=BB2_130 Depth=3
	s_or_b32 exec_lo, exec_lo, s23
                                        ; implicit-def: $vgpr2
.LBB2_217:                              ;   in Loop: Header=BB2_130 Depth=3
	s_and_not1_saveexec_b32 s8, s22
; %bb.218:                              ;   in Loop: Header=BB2_130 Depth=3
	v_or_b32_e32 v73, 0x7b, v2
; %bb.219:                              ;   in Loop: Header=BB2_130 Depth=3
	s_or_b32 exec_lo, exec_lo, s8
                                        ; implicit-def: $vgpr17
                                        ; implicit-def: $vgpr4_vgpr5
                                        ; implicit-def: $vgpr2
.LBB2_220:                              ;   in Loop: Header=BB2_130 Depth=3
	s_and_not1_saveexec_b32 s8, s21
	s_cbranch_execz .LBB2_226
; %bb.221:                              ;   in Loop: Header=BB2_130 Depth=3
	s_mov_b32 s21, exec_lo
                                        ; implicit-def: $vgpr73
	v_cmpx_ne_u64_e32 0, v[4:5]
	s_xor_b32 s21, exec_lo, s21
; %bb.222:                              ;   in Loop: Header=BB2_130 Depth=3
	v_or_b32_e32 v73, 0x7f, v2
                                        ; implicit-def: $vgpr17
; %bb.223:                              ;   in Loop: Header=BB2_130 Depth=3
	s_and_not1_saveexec_b32 s21, s21
; %bb.224:                              ;   in Loop: Header=BB2_130 Depth=3
	v_cmp_lt_i32_e32 vcc_lo, -1, v17
	v_cndmask_b32_e32 v73, 0xfc, v58, vcc_lo
; %bb.225:                              ;   in Loop: Header=BB2_130 Depth=3
	s_or_b32 exec_lo, exec_lo, s21
.LBB2_226:                              ;   in Loop: Header=BB2_130 Depth=3
	s_delay_alu instid0(SALU_CYCLE_1) | instskip(SKIP_3) | instid1(VALU_DEP_2)
	s_or_b32 exec_lo, exec_lo, s8
	v_dual_mov_b32 v5, 0 :: v_dual_lshrrev_b32 v2, 16, v16
	v_mov_b32_e32 v4, 0
	s_mov_b32 s8, exec_lo
	v_and_b32_e32 v17, 0xff, v2
	s_delay_alu instid0(VALU_DEP_1)
	v_cmpx_ne_u16_e32 0, v17
	s_cbranch_execz .LBB2_236
; %bb.227:                              ;   in Loop: Header=BB2_130 Depth=3
	v_bfrev_b32_e32 v4, 1
	s_mov_b32 s21, exec_lo
	v_cmpx_ne_u16_e32 0x80, v17
	s_cbranch_execz .LBB2_235
; %bb.228:                              ;   in Loop: Header=BB2_130 Depth=3
	v_and_b32_e32 v4, 0x7c0000, v16
	v_bfe_u32 v17, v16, 16, 2
	s_delay_alu instid0(VALU_DEP_2) | instskip(SKIP_1) | instid1(SALU_CYCLE_1)
	v_cmp_ne_u32_e32 vcc_lo, 0x7c0000, v4
                                        ; implicit-def: $vgpr4
	s_and_saveexec_b32 s22, vcc_lo
	s_xor_b32 s22, exec_lo, s22
	s_cbranch_execz .LBB2_232
; %bb.229:                              ;   in Loop: Header=BB2_130 Depth=3
	v_bfe_u32 v4, v16, 18, 5
	s_mov_b32 s23, exec_lo
	s_delay_alu instid0(VALU_DEP_1)
	v_cmpx_eq_u32_e32 0, v4
; %bb.230:                              ;   in Loop: Header=BB2_130 Depth=3
	v_clz_i32_u32_e32 v4, v17
	s_delay_alu instid0(VALU_DEP_1) | instskip(NEXT) | instid1(VALU_DEP_1)
	v_min_u32_e32 v4, 32, v4
	v_subrev_nc_u32_e32 v17, 29, v4
	s_delay_alu instid0(VALU_DEP_1) | instskip(NEXT) | instid1(VALU_DEP_1)
	v_lshlrev_b64_e32 v[46:47], v17, v[2:3]
	v_dual_sub_nc_u32 v4, 30, v4 :: v_dual_bitop2_b32 v17, 3, v46 bitop3:0x40
; %bb.231:                              ;   in Loop: Header=BB2_130 Depth=3
	s_or_b32 exec_lo, exec_lo, s23
	v_lshlrev_b32_e32 v2, 24, v2
	s_delay_alu instid0(VALU_DEP_1) | instskip(NEXT) | instid1(VALU_DEP_1)
	v_and_b32_e32 v2, 0x80000000, v2
	v_lshl_add_u32 v2, v4, 23, v2
	s_delay_alu instid0(VALU_DEP_1) | instskip(NEXT) | instid1(VALU_DEP_1)
	v_lshl_or_b32 v2, v17, 21, v2
                                        ; implicit-def: $vgpr17
	v_add_nc_u32_e32 v4, 0x38000000, v2
                                        ; implicit-def: $vgpr2
.LBB2_232:                              ;   in Loop: Header=BB2_130 Depth=3
	s_and_not1_saveexec_b32 s22, s22
; %bb.233:                              ;   in Loop: Header=BB2_130 Depth=3
	v_bfe_i32 v2, v2, 0, 8
	s_delay_alu instid0(VALU_DEP_1) | instskip(SKIP_2) | instid1(VALU_DEP_2)
	v_cmp_lt_i16_e32 vcc_lo, -1, v2
	v_cndmask_b32_e32 v2, 0xff800000, v21, vcc_lo
	v_cmp_eq_u32_e32 vcc_lo, 0, v17
	v_cndmask_b32_e32 v4, 0x7f800001, v2, vcc_lo
; %bb.234:                              ;   in Loop: Header=BB2_130 Depth=3
	s_or_b32 exec_lo, exec_lo, s22
.LBB2_235:                              ;   in Loop: Header=BB2_130 Depth=3
	s_delay_alu instid0(SALU_CYCLE_1)
	s_or_b32 exec_lo, exec_lo, s21
.LBB2_236:                              ;   in Loop: Header=BB2_130 Depth=3
	s_delay_alu instid0(SALU_CYCLE_1) | instskip(SKIP_2) | instid1(VALU_DEP_1)
	s_or_b32 exec_lo, exec_lo, s8
	v_lshrrev_b32_e32 v2, 16, v54
	s_mov_b32 s8, exec_lo
	v_and_b32_e32 v17, 0xff, v2
	s_delay_alu instid0(VALU_DEP_1)
	v_cmpx_ne_u16_e32 0, v17
	s_cbranch_execz .LBB2_246
; %bb.237:                              ;   in Loop: Header=BB2_130 Depth=3
	v_bfrev_b32_e32 v5, 1
	s_mov_b32 s21, exec_lo
	v_cmpx_ne_u16_e32 0x80, v17
	s_cbranch_execz .LBB2_245
; %bb.238:                              ;   in Loop: Header=BB2_130 Depth=3
	v_and_b32_e32 v5, 0x7c0000, v54
	v_bfe_u32 v17, v54, 16, 2
	s_delay_alu instid0(VALU_DEP_2) | instskip(SKIP_1) | instid1(SALU_CYCLE_1)
	v_cmp_ne_u32_e32 vcc_lo, 0x7c0000, v5
                                        ; implicit-def: $vgpr5
	s_and_saveexec_b32 s22, vcc_lo
	s_xor_b32 s22, exec_lo, s22
	s_cbranch_execz .LBB2_242
; %bb.239:                              ;   in Loop: Header=BB2_130 Depth=3
	v_bfe_u32 v5, v54, 18, 5
	v_lshrrev_b32_e32 v2, 16, v54
	s_mov_b32 s23, exec_lo
	s_delay_alu instid0(VALU_DEP_2)
	v_cmpx_eq_u32_e32 0, v5
; %bb.240:                              ;   in Loop: Header=BB2_130 Depth=3
	v_clz_i32_u32_e32 v5, v17
	s_delay_alu instid0(VALU_DEP_1) | instskip(NEXT) | instid1(VALU_DEP_1)
	v_min_u32_e32 v5, 32, v5
	v_subrev_nc_u32_e32 v17, 29, v5
	s_delay_alu instid0(VALU_DEP_1) | instskip(NEXT) | instid1(VALU_DEP_1)
	v_lshlrev_b64_e32 v[46:47], v17, v[2:3]
	v_dual_sub_nc_u32 v5, 30, v5 :: v_dual_bitop2_b32 v17, 3, v46 bitop3:0x40
; %bb.241:                              ;   in Loop: Header=BB2_130 Depth=3
	s_or_b32 exec_lo, exec_lo, s23
	v_lshlrev_b32_e32 v2, 24, v2
	s_delay_alu instid0(VALU_DEP_1) | instskip(NEXT) | instid1(VALU_DEP_1)
	v_and_b32_e32 v2, 0x80000000, v2
	v_lshl_add_u32 v2, v5, 23, v2
	s_delay_alu instid0(VALU_DEP_1) | instskip(NEXT) | instid1(VALU_DEP_1)
	v_lshl_or_b32 v2, v17, 21, v2
                                        ; implicit-def: $vgpr17
	v_add_nc_u32_e32 v5, 0x38000000, v2
                                        ; implicit-def: $vgpr2
.LBB2_242:                              ;   in Loop: Header=BB2_130 Depth=3
	s_and_not1_saveexec_b32 s22, s22
; %bb.243:                              ;   in Loop: Header=BB2_130 Depth=3
	v_bfe_i32 v2, v2, 0, 8
	s_delay_alu instid0(VALU_DEP_1) | instskip(SKIP_2) | instid1(VALU_DEP_2)
	v_cmp_lt_i16_e32 vcc_lo, -1, v2
	v_cndmask_b32_e32 v2, 0xff800000, v21, vcc_lo
	v_cmp_eq_u32_e32 vcc_lo, 0, v17
	v_cndmask_b32_e32 v5, 0x7f800001, v2, vcc_lo
; %bb.244:                              ;   in Loop: Header=BB2_130 Depth=3
	s_or_b32 exec_lo, exec_lo, s22
.LBB2_245:                              ;   in Loop: Header=BB2_130 Depth=3
	s_delay_alu instid0(SALU_CYCLE_1)
	s_or_b32 exec_lo, exec_lo, s21
.LBB2_246:                              ;   in Loop: Header=BB2_130 Depth=3
	s_delay_alu instid0(SALU_CYCLE_1) | instskip(NEXT) | instid1(VALU_DEP_1)
	s_or_b32 exec_lo, exec_lo, s8
	v_dual_mul_f32 v17, v4, v5 :: v_dual_mov_b32 v47, v55
	s_delay_alu instid0(VALU_DEP_1) | instskip(SKIP_2) | instid1(VALU_DEP_2)
	v_dual_mov_b32 v5, v55 :: v_dual_lshrrev_b32 v2, 24, v17
	v_and_b32_e32 v46, 0x7f800000, v17
	v_and_b32_e32 v4, 0x7fffff, v17
	v_cmp_ne_u64_e32 vcc_lo, 0x7f800000, v[46:47]
                                        ; implicit-def: $vgpr46
	s_and_saveexec_b32 s8, vcc_lo
	s_delay_alu instid0(SALU_CYCLE_1)
	s_xor_b32 s21, exec_lo, s8
	s_cbranch_execz .LBB2_260
; %bb.247:                              ;   in Loop: Header=BB2_130 Depth=3
	v_and_b32_e32 v46, 0x7fffffff, v17
	v_mov_b32_e32 v47, v55
	v_and_b32_e32 v2, 0x80, v2
	s_delay_alu instid0(VALU_DEP_2) | instskip(SKIP_1) | instid1(SALU_CYCLE_1)
	v_cmp_gt_u64_e32 vcc_lo, 0x47600001, v[46:47]
                                        ; implicit-def: $vgpr46
	s_and_saveexec_b32 s8, vcc_lo
	s_xor_b32 s22, exec_lo, s8
	s_cbranch_execz .LBB2_257
; %bb.248:                              ;   in Loop: Header=BB2_130 Depth=3
	v_mov_b32_e32 v46, 0
	s_mov_b32 s23, exec_lo
	v_cmpx_ne_u32_e32 0, v17
	s_cbranch_execz .LBB2_256
; %bb.249:                              ;   in Loop: Header=BB2_130 Depth=3
	v_bfe_u32 v17, v17, 23, 8
	v_or_b32_e32 v78, 0x800000, v4
	s_delay_alu instid0(VALU_DEP_2) | instskip(SKIP_1) | instid1(VALU_DEP_2)
	v_sub_nc_u32_e32 v46, 0x71, v17
	v_cmp_gt_u32_e32 vcc_lo, 0x72, v17
	v_cndmask_b32_e32 v46, 0, v46, vcc_lo
	v_cmp_eq_u32_e32 vcc_lo, 0, v17
	s_delay_alu instid0(VALU_DEP_2) | instskip(NEXT) | instid1(VALU_DEP_1)
	v_cndmask_b32_e64 v77, v46, 0x70, vcc_lo
	v_dual_cndmask_b32 v4, v78, v4, vcc_lo :: v_dual_add_nc_u32 v46, 21, v77
	v_add_nc_u32_e32 v79, 20, v77
	s_delay_alu instid0(VALU_DEP_2) | instskip(NEXT) | instid1(VALU_DEP_2)
	v_lshlrev_b64_e64 v[46:47], v46, -1
	v_lshlrev_b64_e64 v[78:79], v79, 1
	s_delay_alu instid0(VALU_DEP_2) | instskip(SKIP_1) | instid1(VALU_DEP_4)
	v_bfi_b32 v46, v46, 0, v4
	v_lshrrev_b64 v[4:5], v77, v[4:5]
	v_bfi_b32 v47, v47, 0, 0
	s_delay_alu instid0(VALU_DEP_1) | instskip(NEXT) | instid1(VALU_DEP_3)
	v_cmp_eq_u64_e64 s8, v[46:47], v[78:79]
	v_mov_b64_e32 v[46:47], v[4:5]
	s_and_saveexec_b32 s24, s8
; %bb.250:                              ;   in Loop: Header=BB2_130 Depth=3
	v_bfe_u32 v46, v4, 21, 1
	v_mov_b32_e32 v47, v55
	s_delay_alu instid0(VALU_DEP_1) | instskip(NEXT) | instid1(VALU_DEP_1)
	v_add_nc_u64_e32 v[46:47], v[4:5], v[46:47]
	v_add_nc_u64_e32 v[46:47], -1, v[46:47]
; %bb.251:                              ;   in Loop: Header=BB2_130 Depth=3
	s_or_b32 exec_lo, exec_lo, s24
	v_add_nc_u32_e32 v5, 0xffffff81, v17
	v_lshrrev_b32_e32 v17, 23, v4
	s_mov_b32 s8, exec_lo
	s_delay_alu instid0(VALU_DEP_2) | instskip(NEXT) | instid1(VALU_DEP_1)
	v_cndmask_b32_e64 v5, v5, 0xffffff82, vcc_lo
	v_add3_u32 v47, v77, v5, v17
	v_and_b32_e32 v5, 0x1fffff, v46
                                        ; implicit-def: $vgpr17
	s_delay_alu instid0(VALU_DEP_1) | instskip(SKIP_1) | instid1(VALU_DEP_2)
	v_dual_add_nc_u32 v46, 14, v47 :: v_dual_add_nc_u32 v4, v5, v4
	v_mov_b32_e32 v5, v55
	v_cmpx_ne_u32_e32 0, v46
	s_xor_b32 s8, exec_lo, s8
; %bb.252:                              ;   in Loop: Header=BB2_130 Depth=3
	s_delay_alu instid0(VALU_DEP_2) | instskip(SKIP_1) | instid1(VALU_DEP_1)
	v_cmp_lt_u64_e32 vcc_lo, 0xffffff, v[4:5]
	v_add_nc_u32_e32 v17, 15, v47
	v_cndmask_b32_e32 v17, v46, v17, vcc_lo
	v_cndmask_b32_e64 v46, 0, 1, vcc_lo
	s_delay_alu instid0(VALU_DEP_1)
	v_lshrrev_b64 v[4:5], v46, v[4:5]
; %bb.253:                              ;   in Loop: Header=BB2_130 Depth=3
	s_and_not1_saveexec_b32 s8, s8
; %bb.254:                              ;   in Loop: Header=BB2_130 Depth=3
	s_delay_alu instid0(VALU_DEP_1)
	v_bfe_u32 v17, v4, 23, 1
; %bb.255:                              ;   in Loop: Header=BB2_130 Depth=3
	s_or_b32 exec_lo, exec_lo, s8
	s_delay_alu instid0(VALU_DEP_2) | instskip(NEXT) | instid1(VALU_DEP_2)
	v_lshrrev_b64 v[4:5], 21, v[4:5]
	v_cmp_gt_i32_e32 vcc_lo, 32, v17
	v_min_i32_e32 v46, 31, v17
	v_cmp_eq_u32_e64 s8, 0, v17
	s_delay_alu instid0(VALU_DEP_2) | instskip(SKIP_1) | instid1(VALU_DEP_2)
	v_dual_cndmask_b32 v4, 3, v4, vcc_lo :: v_dual_lshlrev_b32 v46, 2, v46
	v_cndmask_b32_e32 v5, 0, v5, vcc_lo
	v_and_b32_e32 v46, 0xfc, v46
	s_delay_alu instid0(VALU_DEP_2) | instskip(NEXT) | instid1(VALU_DEP_2)
	v_cmp_eq_u64_e32 vcc_lo, 0, v[4:5]
	v_and_or_b32 v4, v4, 3, v46
	s_and_b32 s8, s8, vcc_lo
	s_delay_alu instid0(VALU_DEP_1) | instid1(SALU_CYCLE_1)
	v_cndmask_b32_e64 v4, v4, 0, s8
	s_delay_alu instid0(VALU_DEP_1)
	v_or_b32_e32 v46, v4, v2
.LBB2_256:                              ;   in Loop: Header=BB2_130 Depth=3
	s_or_b32 exec_lo, exec_lo, s23
                                        ; implicit-def: $vgpr2
.LBB2_257:                              ;   in Loop: Header=BB2_130 Depth=3
	s_and_not1_saveexec_b32 s8, s22
; %bb.258:                              ;   in Loop: Header=BB2_130 Depth=3
	v_or_b32_e32 v46, 0x7b, v2
; %bb.259:                              ;   in Loop: Header=BB2_130 Depth=3
	s_or_b32 exec_lo, exec_lo, s8
                                        ; implicit-def: $vgpr17
                                        ; implicit-def: $vgpr4_vgpr5
                                        ; implicit-def: $vgpr2
.LBB2_260:                              ;   in Loop: Header=BB2_130 Depth=3
	s_and_not1_saveexec_b32 s8, s21
	s_cbranch_execz .LBB2_266
; %bb.261:                              ;   in Loop: Header=BB2_130 Depth=3
	s_mov_b32 s21, exec_lo
                                        ; implicit-def: $vgpr46
	v_cmpx_ne_u64_e32 0, v[4:5]
	s_xor_b32 s21, exec_lo, s21
; %bb.262:                              ;   in Loop: Header=BB2_130 Depth=3
	v_or_b32_e32 v46, 0x7f, v2
                                        ; implicit-def: $vgpr17
; %bb.263:                              ;   in Loop: Header=BB2_130 Depth=3
	s_and_not1_saveexec_b32 s21, s21
; %bb.264:                              ;   in Loop: Header=BB2_130 Depth=3
	v_cmp_lt_i32_e32 vcc_lo, -1, v17
	v_cndmask_b32_e32 v46, 0xfc, v58, vcc_lo
; %bb.265:                              ;   in Loop: Header=BB2_130 Depth=3
	s_or_b32 exec_lo, exec_lo, s21
.LBB2_266:                              ;   in Loop: Header=BB2_130 Depth=3
	s_delay_alu instid0(SALU_CYCLE_1)
	s_or_b32 exec_lo, exec_lo, s8
	v_dual_mov_b32 v4, 0 :: v_dual_mov_b32 v5, 0
	s_mov_b32 s8, exec_lo
	v_cmpx_lt_u32_e32 0xffffff, v16
	s_cbranch_execz .LBB2_276
; %bb.267:                              ;   in Loop: Header=BB2_130 Depth=3
	v_lshrrev_b32_e32 v2, 24, v16
	v_bfrev_b32_e32 v5, 1
	s_mov_b32 s21, exec_lo
	s_delay_alu instid0(VALU_DEP_2)
	v_cmpx_ne_u32_e32 0x80, v2
	s_cbranch_execz .LBB2_275
; %bb.268:                              ;   in Loop: Header=BB2_130 Depth=3
	v_and_b32_e32 v5, 0x7c000000, v16
	v_bfe_u32 v17, v16, 24, 2
	s_delay_alu instid0(VALU_DEP_2) | instskip(SKIP_1) | instid1(SALU_CYCLE_1)
	v_cmp_ne_u32_e32 vcc_lo, 0x7c000000, v5
                                        ; implicit-def: $vgpr5
	s_and_saveexec_b32 s22, vcc_lo
	s_xor_b32 s22, exec_lo, s22
	s_cbranch_execz .LBB2_272
; %bb.269:                              ;   in Loop: Header=BB2_130 Depth=3
	v_bfe_u32 v5, v16, 26, 5
	s_mov_b32 s23, exec_lo
	s_delay_alu instid0(VALU_DEP_1)
	v_cmpx_eq_u32_e32 0, v5
; %bb.270:                              ;   in Loop: Header=BB2_130 Depth=3
	v_clz_i32_u32_e32 v5, v17
	s_delay_alu instid0(VALU_DEP_1) | instskip(NEXT) | instid1(VALU_DEP_1)
	v_min_u32_e32 v5, 32, v5
	v_subrev_nc_u32_e32 v17, 29, v5
	s_delay_alu instid0(VALU_DEP_1) | instskip(NEXT) | instid1(VALU_DEP_1)
	v_lshlrev_b64_e32 v[78:79], v17, v[2:3]
	v_dual_sub_nc_u32 v5, 30, v5 :: v_dual_bitop2_b32 v17, 3, v78 bitop3:0x40
; %bb.271:                              ;   in Loop: Header=BB2_130 Depth=3
	s_or_b32 exec_lo, exec_lo, s23
	v_and_b32_e32 v2, 0x80000000, v16
	s_delay_alu instid0(VALU_DEP_1) | instskip(NEXT) | instid1(VALU_DEP_1)
	v_lshl_add_u32 v2, v5, 23, v2
	v_lshl_or_b32 v2, v17, 21, v2
                                        ; implicit-def: $vgpr17
	s_delay_alu instid0(VALU_DEP_1)
	v_add_nc_u32_e32 v5, 0x38000000, v2
.LBB2_272:                              ;   in Loop: Header=BB2_130 Depth=3
	s_and_not1_saveexec_b32 s22, s22
; %bb.273:                              ;   in Loop: Header=BB2_130 Depth=3
	v_cmp_lt_i32_e32 vcc_lo, -1, v16
	v_cndmask_b32_e32 v2, 0xff800000, v21, vcc_lo
	v_cmp_eq_u32_e32 vcc_lo, 0, v17
	s_delay_alu instid0(VALU_DEP_2)
	v_cndmask_b32_e32 v5, 0x7f800001, v2, vcc_lo
; %bb.274:                              ;   in Loop: Header=BB2_130 Depth=3
	s_or_b32 exec_lo, exec_lo, s22
.LBB2_275:                              ;   in Loop: Header=BB2_130 Depth=3
	s_delay_alu instid0(SALU_CYCLE_1)
	s_or_b32 exec_lo, exec_lo, s21
.LBB2_276:                              ;   in Loop: Header=BB2_130 Depth=3
	s_delay_alu instid0(SALU_CYCLE_1) | instskip(NEXT) | instid1(SALU_CYCLE_1)
	s_or_b32 exec_lo, exec_lo, s8
	s_mov_b32 s8, exec_lo
	v_cmpx_lt_u32_e32 0xffffff, v54
	s_cbranch_execz .LBB2_286
; %bb.277:                              ;   in Loop: Header=BB2_130 Depth=3
	v_lshrrev_b32_e32 v2, 24, v54
	v_bfrev_b32_e32 v4, 1
	s_mov_b32 s21, exec_lo
	s_delay_alu instid0(VALU_DEP_2)
	v_cmpx_ne_u32_e32 0x80, v2
	s_cbranch_execz .LBB2_285
; %bb.278:                              ;   in Loop: Header=BB2_130 Depth=3
	v_and_b32_e32 v4, 0x7c000000, v54
	v_bfe_u32 v16, v54, 24, 2
	s_delay_alu instid0(VALU_DEP_2) | instskip(SKIP_1) | instid1(SALU_CYCLE_1)
	v_cmp_ne_u32_e32 vcc_lo, 0x7c000000, v4
                                        ; implicit-def: $vgpr4
	s_and_saveexec_b32 s22, vcc_lo
	s_xor_b32 s22, exec_lo, s22
	s_cbranch_execz .LBB2_282
; %bb.279:                              ;   in Loop: Header=BB2_130 Depth=3
	v_bfe_u32 v4, v54, 26, 5
	s_mov_b32 s23, exec_lo
	s_delay_alu instid0(VALU_DEP_1)
	v_cmpx_eq_u32_e32 0, v4
; %bb.280:                              ;   in Loop: Header=BB2_130 Depth=3
	v_clz_i32_u32_e32 v4, v16
	s_delay_alu instid0(VALU_DEP_1) | instskip(NEXT) | instid1(VALU_DEP_1)
	v_min_u32_e32 v4, 32, v4
	v_subrev_nc_u32_e32 v16, 29, v4
	v_sub_nc_u32_e32 v4, 30, v4
	s_delay_alu instid0(VALU_DEP_2) | instskip(NEXT) | instid1(VALU_DEP_1)
	v_lshlrev_b64_e32 v[16:17], v16, v[2:3]
	v_and_b32_e32 v16, 3, v16
; %bb.281:                              ;   in Loop: Header=BB2_130 Depth=3
	s_or_b32 exec_lo, exec_lo, s23
	v_and_b32_e32 v2, 0x80000000, v54
	s_delay_alu instid0(VALU_DEP_1) | instskip(NEXT) | instid1(VALU_DEP_1)
	v_lshl_add_u32 v2, v4, 23, v2
	v_lshl_or_b32 v2, v16, 21, v2
                                        ; implicit-def: $vgpr16
	s_delay_alu instid0(VALU_DEP_1)
	v_add_nc_u32_e32 v4, 0x38000000, v2
.LBB2_282:                              ;   in Loop: Header=BB2_130 Depth=3
	s_and_not1_saveexec_b32 s22, s22
; %bb.283:                              ;   in Loop: Header=BB2_130 Depth=3
	v_cmp_lt_i32_e32 vcc_lo, -1, v54
	v_cndmask_b32_e32 v2, 0xff800000, v21, vcc_lo
	v_cmp_eq_u32_e32 vcc_lo, 0, v16
	s_delay_alu instid0(VALU_DEP_2)
	v_cndmask_b32_e32 v4, 0x7f800001, v2, vcc_lo
; %bb.284:                              ;   in Loop: Header=BB2_130 Depth=3
	s_or_b32 exec_lo, exec_lo, s22
.LBB2_285:                              ;   in Loop: Header=BB2_130 Depth=3
	s_delay_alu instid0(SALU_CYCLE_1)
	s_or_b32 exec_lo, exec_lo, s21
.LBB2_286:                              ;   in Loop: Header=BB2_130 Depth=3
	s_delay_alu instid0(SALU_CYCLE_1) | instskip(NEXT) | instid1(VALU_DEP_1)
	s_or_b32 exec_lo, exec_lo, s8
	v_dual_mul_f32 v4, v5, v4 :: v_dual_mov_b32 v17, v55
                                        ; implicit-def: $vgpr47
	s_mov_b32 s8, exec_lo
	s_delay_alu instid0(VALU_DEP_1) | instskip(SKIP_2) | instid1(VALU_DEP_3)
	v_and_b32_e32 v16, 0x7f800000, v4
	v_and_b32_e32 v54, 0x7fffff, v4
	v_lshrrev_b32_e32 v2, 24, v4
	v_cmpx_ne_u64_e32 0x7f800000, v[16:17]
	s_xor_b32 s21, exec_lo, s8
	s_cbranch_execz .LBB2_300
; %bb.287:                              ;   in Loop: Header=BB2_130 Depth=3
	v_and_b32_e32 v16, 0x7fffffff, v4
	v_mov_b32_e32 v17, v55
	v_and_b32_e32 v2, 0x80, v2
                                        ; implicit-def: $vgpr47
	s_mov_b32 s8, exec_lo
	s_delay_alu instid0(VALU_DEP_2)
	v_cmpx_gt_u64_e32 0x47600001, v[16:17]
	s_xor_b32 s22, exec_lo, s8
	s_cbranch_execz .LBB2_297
; %bb.288:                              ;   in Loop: Header=BB2_130 Depth=3
	v_mov_b32_e32 v47, 0
	s_mov_b32 s23, exec_lo
	v_cmpx_ne_u32_e32 0, v4
	s_cbranch_execz .LBB2_296
; %bb.289:                              ;   in Loop: Header=BB2_130 Depth=3
	v_bfe_u32 v47, v4, 23, 8
	v_or_b32_e32 v16, 0x800000, v54
	s_delay_alu instid0(VALU_DEP_2) | instskip(SKIP_1) | instid1(VALU_DEP_2)
	v_sub_nc_u32_e32 v4, 0x71, v47
	v_cmp_gt_u32_e32 vcc_lo, 0x72, v47
	v_cndmask_b32_e32 v4, 0, v4, vcc_lo
	v_cmp_eq_u32_e32 vcc_lo, 0, v47
	s_delay_alu instid0(VALU_DEP_2) | instskip(NEXT) | instid1(VALU_DEP_1)
	v_cndmask_b32_e64 v77, v4, 0x70, vcc_lo
	v_dual_cndmask_b32 v54, v16, v54, vcc_lo :: v_dual_add_nc_u32 v4, 21, v77
	v_add_nc_u32_e32 v17, 20, v77
	s_delay_alu instid0(VALU_DEP_2) | instskip(NEXT) | instid1(VALU_DEP_2)
	v_lshlrev_b64_e64 v[4:5], v4, -1
	v_lshlrev_b64_e64 v[16:17], v17, 1
	s_delay_alu instid0(VALU_DEP_2) | instskip(NEXT) | instid1(VALU_DEP_3)
	v_bfi_b32 v79, v5, 0, 0
	v_bfi_b32 v78, v4, 0, v54
	v_lshrrev_b64 v[4:5], v77, v[54:55]
	s_delay_alu instid0(VALU_DEP_2) | instskip(NEXT) | instid1(VALU_DEP_2)
	v_cmp_eq_u64_e64 s8, v[78:79], v[16:17]
	v_mov_b64_e32 v[16:17], v[4:5]
	s_and_saveexec_b32 s24, s8
; %bb.290:                              ;   in Loop: Header=BB2_130 Depth=3
	v_bfe_u32 v54, v4, 21, 1
	s_delay_alu instid0(VALU_DEP_1) | instskip(NEXT) | instid1(VALU_DEP_1)
	v_add_nc_u64_e32 v[16:17], v[4:5], v[54:55]
	v_add_nc_u64_e32 v[16:17], -1, v[16:17]
; %bb.291:                              ;   in Loop: Header=BB2_130 Depth=3
	s_or_b32 exec_lo, exec_lo, s24
	v_add_nc_u32_e32 v5, 0xffffff81, v47
	v_lshrrev_b32_e32 v17, 23, v4
	s_mov_b32 s8, exec_lo
	s_delay_alu instid0(VALU_DEP_2) | instskip(NEXT) | instid1(VALU_DEP_1)
	v_cndmask_b32_e64 v5, v5, 0xffffff82, vcc_lo
	v_add3_u32 v17, v77, v5, v17
	v_and_b32_e32 v5, 0x1fffff, v16
                                        ; implicit-def: $vgpr16
	s_delay_alu instid0(VALU_DEP_1) | instskip(NEXT) | instid1(VALU_DEP_1)
	v_dual_add_nc_u32 v47, 14, v17 :: v_dual_add_nc_u32 v54, v5, v4
                                        ; implicit-def: $vgpr4_vgpr5
	v_cmpx_ne_u32_e32 0, v47
	s_xor_b32 s8, exec_lo, s8
; %bb.292:                              ;   in Loop: Header=BB2_130 Depth=3
	s_delay_alu instid0(VALU_DEP_2) | instskip(SKIP_1) | instid1(VALU_DEP_1)
	v_cmp_lt_u64_e32 vcc_lo, 0xffffff, v[54:55]
	v_add_nc_u32_e32 v4, 15, v17
	v_cndmask_b32_e32 v16, v47, v4, vcc_lo
	v_cndmask_b32_e64 v4, 0, 1, vcc_lo
	s_delay_alu instid0(VALU_DEP_1)
	v_lshrrev_b64 v[4:5], v4, v[54:55]
; %bb.293:                              ;   in Loop: Header=BB2_130 Depth=3
	s_and_not1_saveexec_b32 s8, s8
; %bb.294:                              ;   in Loop: Header=BB2_130 Depth=3
	v_mov_b64_e32 v[4:5], v[54:55]
	v_bfe_u32 v16, v54, 23, 1
; %bb.295:                              ;   in Loop: Header=BB2_130 Depth=3
	s_or_b32 exec_lo, exec_lo, s8
	s_delay_alu instid0(VALU_DEP_2) | instskip(NEXT) | instid1(VALU_DEP_2)
	v_lshrrev_b64 v[4:5], 21, v[4:5]
	v_cmp_gt_i32_e32 vcc_lo, 32, v16
	v_min_i32_e32 v17, 31, v16
	v_cmp_eq_u32_e64 s8, 0, v16
	s_delay_alu instid0(VALU_DEP_4) | instskip(NEXT) | instid1(VALU_DEP_3)
	v_cndmask_b32_e32 v5, 0, v5, vcc_lo
	v_dual_cndmask_b32 v4, 3, v4 :: v_dual_lshlrev_b32 v17, 2, v17
	s_delay_alu instid0(VALU_DEP_1) | instskip(NEXT) | instid1(VALU_DEP_2)
	v_and_b32_e32 v17, 0xfc, v17
	v_cmp_eq_u64_e32 vcc_lo, 0, v[4:5]
	s_delay_alu instid0(VALU_DEP_2)
	v_and_or_b32 v4, v4, 3, v17
	s_and_b32 s8, s8, vcc_lo
	s_delay_alu instid0(VALU_DEP_1) | instid1(SALU_CYCLE_1)
	v_cndmask_b32_e64 v4, v4, 0, s8
	s_delay_alu instid0(VALU_DEP_1)
	v_or_b32_e32 v47, v4, v2
.LBB2_296:                              ;   in Loop: Header=BB2_130 Depth=3
	s_or_b32 exec_lo, exec_lo, s23
                                        ; implicit-def: $vgpr2
.LBB2_297:                              ;   in Loop: Header=BB2_130 Depth=3
	s_and_not1_saveexec_b32 s8, s22
; %bb.298:                              ;   in Loop: Header=BB2_130 Depth=3
	v_or_b32_e32 v47, 0x7b, v2
; %bb.299:                              ;   in Loop: Header=BB2_130 Depth=3
	s_or_b32 exec_lo, exec_lo, s8
                                        ; implicit-def: $vgpr4
                                        ; implicit-def: $vgpr2
.LBB2_300:                              ;   in Loop: Header=BB2_130 Depth=3
	s_and_not1_saveexec_b32 s8, s21
	s_cbranch_execz .LBB2_306
; %bb.301:                              ;   in Loop: Header=BB2_130 Depth=3
	s_mov_b32 s21, exec_lo
                                        ; implicit-def: $vgpr47
	v_cmpx_ne_u64_e32 0, v[54:55]
	s_xor_b32 s21, exec_lo, s21
; %bb.302:                              ;   in Loop: Header=BB2_130 Depth=3
	v_or_b32_e32 v47, 0x7f, v2
                                        ; implicit-def: $vgpr4
; %bb.303:                              ;   in Loop: Header=BB2_130 Depth=3
	s_and_not1_saveexec_b32 s21, s21
; %bb.304:                              ;   in Loop: Header=BB2_130 Depth=3
	v_cmp_lt_i32_e32 vcc_lo, -1, v4
	v_cndmask_b32_e32 v47, 0xfc, v58, vcc_lo
; %bb.305:                              ;   in Loop: Header=BB2_130 Depth=3
	s_or_b32 exec_lo, exec_lo, s21
.LBB2_306:                              ;   in Loop: Header=BB2_130 Depth=3
	s_delay_alu instid0(SALU_CYCLE_1) | instskip(SKIP_2) | instid1(VALU_DEP_2)
	s_or_b32 exec_lo, exec_lo, s8
	v_and_b32_e32 v4, 0xff, v18
	v_mov_b32_e32 v2, 0
	v_cmp_ne_u16_e32 vcc_lo, 0, v4
	v_mov_b32_e32 v4, 0
	s_and_saveexec_b32 s8, vcc_lo
	s_cbranch_execz .LBB2_316
; %bb.307:                              ;   in Loop: Header=BB2_130 Depth=3
	v_bfe_i32 v16, v18, 0, 8
	v_bfrev_b32_e32 v4, 1
	s_mov_b32 s21, exec_lo
	s_delay_alu instid0(VALU_DEP_2)
	v_cmpx_ne_u16_e32 0xff80, v16
	s_cbranch_execz .LBB2_315
; %bb.308:                              ;   in Loop: Header=BB2_130 Depth=3
	v_and_b32_e32 v4, 0x7c, v18
	v_and_b32_e32 v5, 3, v18
	s_delay_alu instid0(VALU_DEP_2) | instskip(SKIP_1) | instid1(SALU_CYCLE_1)
	v_cmp_ne_u32_e32 vcc_lo, 0x7c, v4
                                        ; implicit-def: $vgpr4
	s_and_saveexec_b32 s22, vcc_lo
	s_xor_b32 s22, exec_lo, s22
	s_cbranch_execz .LBB2_312
; %bb.309:                              ;   in Loop: Header=BB2_130 Depth=3
	v_bfe_u32 v4, v18, 2, 5
	s_mov_b32 s23, exec_lo
	s_delay_alu instid0(VALU_DEP_1)
	v_cmpx_eq_u32_e32 0, v4
; %bb.310:                              ;   in Loop: Header=BB2_130 Depth=3
	v_clz_i32_u32_e32 v4, v5
	s_delay_alu instid0(VALU_DEP_1) | instskip(NEXT) | instid1(VALU_DEP_1)
	v_min_u32_e32 v4, 32, v4
	v_subrev_nc_u32_e32 v5, 29, v4
	v_sub_nc_u32_e32 v4, 30, v4
	s_delay_alu instid0(VALU_DEP_2) | instskip(NEXT) | instid1(VALU_DEP_1)
	v_lshlrev_b64_e32 v[16:17], v5, v[18:19]
	v_and_b32_e32 v5, 3, v16
; %bb.311:                              ;   in Loop: Header=BB2_130 Depth=3
	s_or_b32 exec_lo, exec_lo, s23
	v_lshlrev_b32_e32 v16, 24, v18
	s_delay_alu instid0(VALU_DEP_1) | instskip(NEXT) | instid1(VALU_DEP_1)
	v_and_b32_e32 v16, 0x80000000, v16
	v_lshl_add_u32 v4, v4, 23, v16
                                        ; implicit-def: $vgpr16
	s_delay_alu instid0(VALU_DEP_1) | instskip(NEXT) | instid1(VALU_DEP_1)
	v_lshl_or_b32 v4, v5, 21, v4
                                        ; implicit-def: $vgpr5
	v_add_nc_u32_e32 v4, 0x38000000, v4
.LBB2_312:                              ;   in Loop: Header=BB2_130 Depth=3
	s_and_not1_saveexec_b32 s22, s22
; %bb.313:                              ;   in Loop: Header=BB2_130 Depth=3
	v_cmp_lt_i16_e32 vcc_lo, -1, v16
	v_cndmask_b32_e32 v4, 0xff800000, v21, vcc_lo
	v_cmp_eq_u32_e32 vcc_lo, 0, v5
	s_delay_alu instid0(VALU_DEP_2)
	v_cndmask_b32_e32 v4, 0x7f800001, v4, vcc_lo
; %bb.314:                              ;   in Loop: Header=BB2_130 Depth=3
	s_or_b32 exec_lo, exec_lo, s22
.LBB2_315:                              ;   in Loop: Header=BB2_130 Depth=3
	s_delay_alu instid0(SALU_CYCLE_1)
	s_or_b32 exec_lo, exec_lo, s21
.LBB2_316:                              ;   in Loop: Header=BB2_130 Depth=3
	s_delay_alu instid0(SALU_CYCLE_1) | instskip(SKIP_2) | instid1(VALU_DEP_1)
	s_or_b32 exec_lo, exec_lo, s8
	v_alignbit_b32 v54, v74, v75, v76
	s_mov_b32 s8, exec_lo
	v_and_b32_e32 v5, 0xff, v54
	s_delay_alu instid0(VALU_DEP_1)
	v_cmpx_ne_u16_e32 0, v5
	s_cbranch_execz .LBB2_326
; %bb.317:                              ;   in Loop: Header=BB2_130 Depth=3
	v_bfe_i32 v16, v54, 0, 8
	v_bfrev_b32_e32 v2, 1
	s_mov_b32 s21, exec_lo
	s_delay_alu instid0(VALU_DEP_2)
	v_cmpx_ne_u16_e32 0xff80, v16
	s_cbranch_execz .LBB2_325
; %bb.318:                              ;   in Loop: Header=BB2_130 Depth=3
	v_and_b32_e32 v2, 0x7c, v54
	v_and_b32_e32 v5, 3, v54
	s_delay_alu instid0(VALU_DEP_2) | instskip(SKIP_1) | instid1(SALU_CYCLE_1)
	v_cmp_ne_u32_e32 vcc_lo, 0x7c, v2
                                        ; implicit-def: $vgpr2
	s_and_saveexec_b32 s22, vcc_lo
	s_xor_b32 s22, exec_lo, s22
	s_cbranch_execz .LBB2_322
; %bb.319:                              ;   in Loop: Header=BB2_130 Depth=3
	v_bfe_u32 v2, v54, 2, 5
	s_mov_b32 s23, exec_lo
	s_delay_alu instid0(VALU_DEP_1)
	v_cmpx_eq_u32_e32 0, v2
; %bb.320:                              ;   in Loop: Header=BB2_130 Depth=3
	v_clz_i32_u32_e32 v2, v5
	s_delay_alu instid0(VALU_DEP_1) | instskip(NEXT) | instid1(VALU_DEP_1)
	v_min_u32_e32 v2, 32, v2
	v_subrev_nc_u32_e32 v5, 29, v2
	s_delay_alu instid0(VALU_DEP_1) | instskip(NEXT) | instid1(VALU_DEP_1)
	v_lshlrev_b64_e32 v[16:17], v5, v[54:55]
	v_dual_sub_nc_u32 v2, 30, v2 :: v_dual_bitop2_b32 v5, 3, v16 bitop3:0x40
; %bb.321:                              ;   in Loop: Header=BB2_130 Depth=3
	s_or_b32 exec_lo, exec_lo, s23
	v_lshlrev_b32_e32 v16, 24, v54
	s_delay_alu instid0(VALU_DEP_1) | instskip(NEXT) | instid1(VALU_DEP_1)
	v_and_b32_e32 v16, 0x80000000, v16
	v_lshl_add_u32 v2, v2, 23, v16
                                        ; implicit-def: $vgpr16
	s_delay_alu instid0(VALU_DEP_1) | instskip(NEXT) | instid1(VALU_DEP_1)
	v_lshl_or_b32 v2, v5, 21, v2
                                        ; implicit-def: $vgpr5
	v_add_nc_u32_e32 v2, 0x38000000, v2
.LBB2_322:                              ;   in Loop: Header=BB2_130 Depth=3
	s_and_not1_saveexec_b32 s22, s22
; %bb.323:                              ;   in Loop: Header=BB2_130 Depth=3
	v_cmp_lt_i16_e32 vcc_lo, -1, v16
	v_cndmask_b32_e32 v2, 0xff800000, v21, vcc_lo
	v_cmp_eq_u32_e32 vcc_lo, 0, v5
	s_delay_alu instid0(VALU_DEP_2)
	v_cndmask_b32_e32 v2, 0x7f800001, v2, vcc_lo
; %bb.324:                              ;   in Loop: Header=BB2_130 Depth=3
	s_or_b32 exec_lo, exec_lo, s22
.LBB2_325:                              ;   in Loop: Header=BB2_130 Depth=3
	s_delay_alu instid0(SALU_CYCLE_1)
	s_or_b32 exec_lo, exec_lo, s21
.LBB2_326:                              ;   in Loop: Header=BB2_130 Depth=3
	s_delay_alu instid0(SALU_CYCLE_1) | instskip(NEXT) | instid1(VALU_DEP_1)
	s_or_b32 exec_lo, exec_lo, s8
	v_dual_mul_f32 v16, v4, v2 :: v_dual_mov_b32 v75, v55
	v_mov_b32_e32 v5, v55
                                        ; implicit-def: $vgpr19
	s_mov_b32 s8, exec_lo
	s_delay_alu instid0(VALU_DEP_2) | instskip(SKIP_2) | instid1(VALU_DEP_3)
	v_and_b32_e32 v74, 0x7f800000, v16
	v_and_b32_e32 v4, 0x7fffff, v16
	v_lshrrev_b32_e32 v2, 24, v16
	v_cmpx_ne_u64_e32 0x7f800000, v[74:75]
	s_xor_b32 s21, exec_lo, s8
	s_cbranch_execz .LBB2_340
; %bb.327:                              ;   in Loop: Header=BB2_130 Depth=3
	v_and_b32_e32 v74, 0x7fffffff, v16
	v_mov_b32_e32 v75, v55
	v_and_b32_e32 v2, 0x80, v2
                                        ; implicit-def: $vgpr19
	s_mov_b32 s8, exec_lo
	s_delay_alu instid0(VALU_DEP_2)
	v_cmpx_gt_u64_e32 0x47600001, v[74:75]
	s_xor_b32 s22, exec_lo, s8
	s_cbranch_execz .LBB2_337
; %bb.328:                              ;   in Loop: Header=BB2_130 Depth=3
	v_mov_b32_e32 v19, 0
	s_mov_b32 s23, exec_lo
	v_cmpx_ne_u32_e32 0, v16
	s_cbranch_execz .LBB2_336
; %bb.329:                              ;   in Loop: Header=BB2_130 Depth=3
	v_bfe_u32 v19, v16, 23, 8
	v_or_b32_e32 v75, 0x800000, v4
	s_delay_alu instid0(VALU_DEP_2) | instskip(SKIP_1) | instid1(VALU_DEP_2)
	v_sub_nc_u32_e32 v16, 0x71, v19
	v_cmp_gt_u32_e32 vcc_lo, 0x72, v19
	v_cndmask_b32_e32 v16, 0, v16, vcc_lo
	v_cmp_eq_u32_e32 vcc_lo, 0, v19
	s_delay_alu instid0(VALU_DEP_2) | instskip(NEXT) | instid1(VALU_DEP_1)
	v_cndmask_b32_e64 v74, v16, 0x70, vcc_lo
	v_dual_cndmask_b32 v4, v75, v4, vcc_lo :: v_dual_add_nc_u32 v16, 21, v74
	v_add_nc_u32_e32 v76, 20, v74
	s_delay_alu instid0(VALU_DEP_2) | instskip(NEXT) | instid1(VALU_DEP_2)
	v_lshlrev_b64_e64 v[16:17], v16, -1
	v_lshlrev_b64_e64 v[76:77], v76, 1
	s_delay_alu instid0(VALU_DEP_2) | instskip(SKIP_1) | instid1(VALU_DEP_4)
	v_bfi_b32 v16, v16, 0, v4
	v_lshrrev_b64 v[4:5], v74, v[4:5]
	v_bfi_b32 v17, v17, 0, 0
	s_delay_alu instid0(VALU_DEP_1) | instskip(NEXT) | instid1(VALU_DEP_3)
	v_cmp_eq_u64_e64 s8, v[16:17], v[76:77]
	v_mov_b64_e32 v[16:17], v[4:5]
	s_and_saveexec_b32 s24, s8
; %bb.330:                              ;   in Loop: Header=BB2_130 Depth=3
	v_bfe_u32 v16, v4, 21, 1
	v_mov_b32_e32 v17, v55
	s_delay_alu instid0(VALU_DEP_1) | instskip(NEXT) | instid1(VALU_DEP_1)
	v_add_nc_u64_e32 v[16:17], v[4:5], v[16:17]
	v_add_nc_u64_e32 v[16:17], -1, v[16:17]
; %bb.331:                              ;   in Loop: Header=BB2_130 Depth=3
	s_or_b32 exec_lo, exec_lo, s24
	v_add_nc_u32_e32 v5, 0xffffff81, v19
	v_lshrrev_b32_e32 v17, 23, v4
	s_mov_b32 s8, exec_lo
	s_delay_alu instid0(VALU_DEP_2) | instskip(NEXT) | instid1(VALU_DEP_1)
	v_cndmask_b32_e64 v5, v5, 0xffffff82, vcc_lo
	v_add3_u32 v17, v74, v5, v17
	v_and_b32_e32 v5, 0x1fffff, v16
                                        ; implicit-def: $vgpr16
	s_delay_alu instid0(VALU_DEP_1) | instskip(SKIP_1) | instid1(VALU_DEP_2)
	v_dual_add_nc_u32 v19, 14, v17 :: v_dual_add_nc_u32 v4, v5, v4
	v_mov_b32_e32 v5, v55
	v_cmpx_ne_u32_e32 0, v19
	s_xor_b32 s8, exec_lo, s8
; %bb.332:                              ;   in Loop: Header=BB2_130 Depth=3
	s_delay_alu instid0(VALU_DEP_2) | instskip(SKIP_2) | instid1(VALU_DEP_2)
	v_cmp_lt_u64_e32 vcc_lo, 0xffffff, v[4:5]
	v_add_nc_u32_e32 v16, 15, v17
	v_cndmask_b32_e64 v17, 0, 1, vcc_lo
	v_cndmask_b32_e32 v16, v19, v16, vcc_lo
	s_delay_alu instid0(VALU_DEP_2)
	v_lshrrev_b64 v[4:5], v17, v[4:5]
; %bb.333:                              ;   in Loop: Header=BB2_130 Depth=3
	s_and_not1_saveexec_b32 s8, s8
; %bb.334:                              ;   in Loop: Header=BB2_130 Depth=3
	s_delay_alu instid0(VALU_DEP_1)
	v_bfe_u32 v16, v4, 23, 1
; %bb.335:                              ;   in Loop: Header=BB2_130 Depth=3
	s_or_b32 exec_lo, exec_lo, s8
	s_delay_alu instid0(VALU_DEP_2) | instskip(NEXT) | instid1(VALU_DEP_2)
	v_lshrrev_b64 v[4:5], 21, v[4:5]
	v_cmp_gt_i32_e32 vcc_lo, 32, v16
	v_min_i32_e32 v17, 31, v16
	v_cmp_eq_u32_e64 s8, 0, v16
	s_delay_alu instid0(VALU_DEP_4) | instskip(NEXT) | instid1(VALU_DEP_3)
	v_cndmask_b32_e32 v5, 0, v5, vcc_lo
	v_dual_cndmask_b32 v4, 3, v4 :: v_dual_lshlrev_b32 v17, 2, v17
	s_delay_alu instid0(VALU_DEP_1) | instskip(NEXT) | instid1(VALU_DEP_2)
	v_and_b32_e32 v17, 0xfc, v17
	v_cmp_eq_u64_e32 vcc_lo, 0, v[4:5]
	s_delay_alu instid0(VALU_DEP_2)
	v_and_or_b32 v4, v4, 3, v17
	s_and_b32 s8, s8, vcc_lo
	s_delay_alu instid0(VALU_DEP_1) | instid1(SALU_CYCLE_1)
	v_cndmask_b32_e64 v4, v4, 0, s8
	s_delay_alu instid0(VALU_DEP_1)
	v_or_b32_e32 v19, v4, v2
.LBB2_336:                              ;   in Loop: Header=BB2_130 Depth=3
	s_or_b32 exec_lo, exec_lo, s23
                                        ; implicit-def: $vgpr2
.LBB2_337:                              ;   in Loop: Header=BB2_130 Depth=3
	s_and_not1_saveexec_b32 s8, s22
; %bb.338:                              ;   in Loop: Header=BB2_130 Depth=3
	v_or_b32_e32 v19, 0x7b, v2
; %bb.339:                              ;   in Loop: Header=BB2_130 Depth=3
	s_or_b32 exec_lo, exec_lo, s8
                                        ; implicit-def: $vgpr16
                                        ; implicit-def: $vgpr4_vgpr5
                                        ; implicit-def: $vgpr2
.LBB2_340:                              ;   in Loop: Header=BB2_130 Depth=3
	s_and_not1_saveexec_b32 s8, s21
	s_cbranch_execz .LBB2_346
; %bb.341:                              ;   in Loop: Header=BB2_130 Depth=3
	s_mov_b32 s21, exec_lo
                                        ; implicit-def: $vgpr19
	v_cmpx_ne_u64_e32 0, v[4:5]
	s_xor_b32 s21, exec_lo, s21
; %bb.342:                              ;   in Loop: Header=BB2_130 Depth=3
	v_or_b32_e32 v19, 0x7f, v2
                                        ; implicit-def: $vgpr16
; %bb.343:                              ;   in Loop: Header=BB2_130 Depth=3
	s_and_not1_saveexec_b32 s21, s21
; %bb.344:                              ;   in Loop: Header=BB2_130 Depth=3
	v_cmp_lt_i32_e32 vcc_lo, -1, v16
	v_cndmask_b32_e32 v19, 0xfc, v58, vcc_lo
; %bb.345:                              ;   in Loop: Header=BB2_130 Depth=3
	s_or_b32 exec_lo, exec_lo, s21
.LBB2_346:                              ;   in Loop: Header=BB2_130 Depth=3
	s_delay_alu instid0(SALU_CYCLE_1) | instskip(SKIP_3) | instid1(VALU_DEP_2)
	s_or_b32 exec_lo, exec_lo, s8
	v_lshrrev_b16 v4, 8, v18
	v_dual_mov_b32 v2, 0 :: v_dual_mov_b32 v16, 0
	s_mov_b32 s8, exec_lo
	v_cmpx_ne_u16_e32 0, v4
	s_cbranch_execz .LBB2_356
; %bb.347:                              ;   in Loop: Header=BB2_130 Depth=3
	v_bfrev_b32_e32 v16, 1
	s_mov_b32 s21, exec_lo
	v_cmpx_ne_u16_e32 0x80, v4
	s_cbranch_execz .LBB2_355
; %bb.348:                              ;   in Loop: Header=BB2_130 Depth=3
	v_and_b32_e32 v17, 0xffff, v4
	s_delay_alu instid0(VALU_DEP_1) | instskip(SKIP_1) | instid1(VALU_DEP_2)
	v_and_b32_e32 v16, 0x7c, v17
	v_and_b32_e32 v5, 3, v17
	v_cmp_ne_u32_e32 vcc_lo, 0x7c, v16
                                        ; implicit-def: $vgpr16
	s_and_saveexec_b32 s22, vcc_lo
	s_delay_alu instid0(SALU_CYCLE_1)
	s_xor_b32 s22, exec_lo, s22
	s_cbranch_execz .LBB2_352
; %bb.349:                              ;   in Loop: Header=BB2_130 Depth=3
	v_bfe_u32 v16, v17, 2, 5
	s_mov_b32 s23, exec_lo
	s_delay_alu instid0(VALU_DEP_1)
	v_cmpx_eq_u32_e32 0, v16
	s_cbranch_execz .LBB2_351
; %bb.350:                              ;   in Loop: Header=BB2_130 Depth=3
	v_clz_i32_u32_e32 v5, v5
	s_delay_alu instid0(VALU_DEP_1) | instskip(SKIP_1) | instid1(VALU_DEP_2)
	v_min_u32_e32 v16, 32, v5
	v_mov_b32_e32 v5, v55
	v_subrev_nc_u32_e32 v17, 29, v16
	v_sub_nc_u32_e32 v16, 30, v16
	s_delay_alu instid0(VALU_DEP_2) | instskip(NEXT) | instid1(VALU_DEP_1)
	v_lshlrev_b64_e32 v[4:5], v17, v[4:5]
	v_and_b32_e32 v5, 3, v4
.LBB2_351:                              ;   in Loop: Header=BB2_130 Depth=3
	s_or_b32 exec_lo, exec_lo, s23
	v_lshlrev_b32_e32 v4, 16, v18
	s_delay_alu instid0(VALU_DEP_1) | instskip(NEXT) | instid1(VALU_DEP_1)
	v_and_b32_e32 v4, 0x80000000, v4
	v_lshl_add_u32 v4, v16, 23, v4
	s_delay_alu instid0(VALU_DEP_1) | instskip(NEXT) | instid1(VALU_DEP_1)
	v_lshl_or_b32 v4, v5, 21, v4
                                        ; implicit-def: $vgpr5
	v_add_nc_u32_e32 v16, 0x38000000, v4
.LBB2_352:                              ;   in Loop: Header=BB2_130 Depth=3
	s_and_not1_saveexec_b32 s22, s22
; %bb.353:                              ;   in Loop: Header=BB2_130 Depth=3
	v_cmp_lt_i16_e32 vcc_lo, -1, v18
	v_cndmask_b32_e32 v4, 0xff800000, v21, vcc_lo
	v_cmp_eq_u32_e32 vcc_lo, 0, v5
	s_delay_alu instid0(VALU_DEP_2)
	v_cndmask_b32_e32 v16, 0x7f800001, v4, vcc_lo
; %bb.354:                              ;   in Loop: Header=BB2_130 Depth=3
	s_or_b32 exec_lo, exec_lo, s22
.LBB2_355:                              ;   in Loop: Header=BB2_130 Depth=3
	s_delay_alu instid0(SALU_CYCLE_1)
	s_or_b32 exec_lo, exec_lo, s21
.LBB2_356:                              ;   in Loop: Header=BB2_130 Depth=3
	s_delay_alu instid0(SALU_CYCLE_1) | instskip(SKIP_2) | instid1(VALU_DEP_1)
	s_or_b32 exec_lo, exec_lo, s8
	v_lshrrev_b16 v4, 8, v54
	s_mov_b32 s8, exec_lo
	v_cmpx_ne_u16_e32 0, v4
	s_cbranch_execz .LBB2_366
; %bb.357:                              ;   in Loop: Header=BB2_130 Depth=3
	v_bfrev_b32_e32 v2, 1
	s_mov_b32 s21, exec_lo
	v_cmpx_ne_u16_e32 0x80, v4
	s_cbranch_execz .LBB2_365
; %bb.358:                              ;   in Loop: Header=BB2_130 Depth=3
	v_and_b32_e32 v17, 0xffff, v4
	s_delay_alu instid0(VALU_DEP_1) | instskip(SKIP_1) | instid1(VALU_DEP_2)
	v_and_b32_e32 v2, 0x7c, v17
	v_and_b32_e32 v5, 3, v17
	v_cmp_ne_u32_e32 vcc_lo, 0x7c, v2
                                        ; implicit-def: $vgpr2
	s_and_saveexec_b32 s22, vcc_lo
	s_delay_alu instid0(SALU_CYCLE_1)
	s_xor_b32 s22, exec_lo, s22
	s_cbranch_execz .LBB2_362
; %bb.359:                              ;   in Loop: Header=BB2_130 Depth=3
	v_bfe_u32 v2, v17, 2, 5
	s_mov_b32 s23, exec_lo
	s_delay_alu instid0(VALU_DEP_1)
	v_cmpx_eq_u32_e32 0, v2
	s_cbranch_execz .LBB2_361
; %bb.360:                              ;   in Loop: Header=BB2_130 Depth=3
	v_clz_i32_u32_e32 v2, v5
	s_delay_alu instid0(VALU_DEP_1) | instskip(SKIP_1) | instid1(VALU_DEP_2)
	v_min_u32_e32 v2, 32, v2
	v_mov_b32_e32 v5, v55
	v_subrev_nc_u32_e32 v17, 29, v2
	v_sub_nc_u32_e32 v2, 30, v2
	s_delay_alu instid0(VALU_DEP_2) | instskip(NEXT) | instid1(VALU_DEP_1)
	v_lshlrev_b64_e32 v[4:5], v17, v[4:5]
	v_and_b32_e32 v5, 3, v4
.LBB2_361:                              ;   in Loop: Header=BB2_130 Depth=3
	s_or_b32 exec_lo, exec_lo, s23
	v_lshlrev_b32_e32 v4, 16, v54
	s_delay_alu instid0(VALU_DEP_1) | instskip(NEXT) | instid1(VALU_DEP_1)
	v_and_b32_e32 v4, 0x80000000, v4
	v_lshl_add_u32 v2, v2, 23, v4
	s_delay_alu instid0(VALU_DEP_1) | instskip(NEXT) | instid1(VALU_DEP_1)
	v_lshl_or_b32 v2, v5, 21, v2
                                        ; implicit-def: $vgpr5
	v_add_nc_u32_e32 v2, 0x38000000, v2
.LBB2_362:                              ;   in Loop: Header=BB2_130 Depth=3
	s_and_not1_saveexec_b32 s22, s22
; %bb.363:                              ;   in Loop: Header=BB2_130 Depth=3
	v_cmp_lt_i16_e32 vcc_lo, -1, v54
	v_cndmask_b32_e32 v2, 0xff800000, v21, vcc_lo
	v_cmp_eq_u32_e32 vcc_lo, 0, v5
	s_delay_alu instid0(VALU_DEP_2)
	v_cndmask_b32_e32 v2, 0x7f800001, v2, vcc_lo
; %bb.364:                              ;   in Loop: Header=BB2_130 Depth=3
	s_or_b32 exec_lo, exec_lo, s22
.LBB2_365:                              ;   in Loop: Header=BB2_130 Depth=3
	s_delay_alu instid0(SALU_CYCLE_1)
	s_or_b32 exec_lo, exec_lo, s21
.LBB2_366:                              ;   in Loop: Header=BB2_130 Depth=3
	s_delay_alu instid0(SALU_CYCLE_1) | instskip(NEXT) | instid1(VALU_DEP_1)
	s_or_b32 exec_lo, exec_lo, s8
	v_dual_mul_f32 v16, v16, v2 :: v_dual_mov_b32 v75, v55
	s_delay_alu instid0(VALU_DEP_1) | instskip(SKIP_2) | instid1(VALU_DEP_2)
	v_dual_mov_b32 v5, v55 :: v_dual_lshrrev_b32 v2, 24, v16
	v_and_b32_e32 v74, 0x7f800000, v16
	v_and_b32_e32 v4, 0x7fffff, v16
	v_cmp_ne_u64_e32 vcc_lo, 0x7f800000, v[74:75]
                                        ; implicit-def: $vgpr74
	s_and_saveexec_b32 s8, vcc_lo
	s_delay_alu instid0(SALU_CYCLE_1)
	s_xor_b32 s21, exec_lo, s8
	s_cbranch_execz .LBB2_380
; %bb.367:                              ;   in Loop: Header=BB2_130 Depth=3
	v_and_b32_e32 v74, 0x7fffffff, v16
	v_mov_b32_e32 v75, v55
	v_and_b32_e32 v2, 0x80, v2
	s_delay_alu instid0(VALU_DEP_2) | instskip(SKIP_1) | instid1(SALU_CYCLE_1)
	v_cmp_gt_u64_e32 vcc_lo, 0x47600001, v[74:75]
                                        ; implicit-def: $vgpr74
	s_and_saveexec_b32 s8, vcc_lo
	s_xor_b32 s22, exec_lo, s8
	s_cbranch_execz .LBB2_377
; %bb.368:                              ;   in Loop: Header=BB2_130 Depth=3
	v_mov_b32_e32 v74, 0
	s_mov_b32 s23, exec_lo
	v_cmpx_ne_u32_e32 0, v16
	s_cbranch_execz .LBB2_376
; %bb.369:                              ;   in Loop: Header=BB2_130 Depth=3
	v_bfe_u32 v74, v16, 23, 8
	v_or_b32_e32 v76, 0x800000, v4
	s_delay_alu instid0(VALU_DEP_2) | instskip(SKIP_1) | instid1(VALU_DEP_2)
	v_sub_nc_u32_e32 v16, 0x71, v74
	v_cmp_gt_u32_e32 vcc_lo, 0x72, v74
	v_cndmask_b32_e32 v16, 0, v16, vcc_lo
	v_cmp_eq_u32_e32 vcc_lo, 0, v74
	s_delay_alu instid0(VALU_DEP_2) | instskip(NEXT) | instid1(VALU_DEP_1)
	v_cndmask_b32_e64 v75, v16, 0x70, vcc_lo
	v_dual_cndmask_b32 v4, v76, v4, vcc_lo :: v_dual_add_nc_u32 v16, 21, v75
	v_add_nc_u32_e32 v77, 20, v75
	s_delay_alu instid0(VALU_DEP_2) | instskip(NEXT) | instid1(VALU_DEP_2)
	v_lshlrev_b64_e64 v[16:17], v16, -1
	v_lshlrev_b64_e64 v[76:77], v77, 1
	s_delay_alu instid0(VALU_DEP_2) | instskip(SKIP_1) | instid1(VALU_DEP_4)
	v_bfi_b32 v16, v16, 0, v4
	v_lshrrev_b64 v[4:5], v75, v[4:5]
	v_bfi_b32 v17, v17, 0, 0
	s_delay_alu instid0(VALU_DEP_1) | instskip(NEXT) | instid1(VALU_DEP_3)
	v_cmp_eq_u64_e64 s8, v[16:17], v[76:77]
	v_mov_b64_e32 v[16:17], v[4:5]
	s_and_saveexec_b32 s24, s8
; %bb.370:                              ;   in Loop: Header=BB2_130 Depth=3
	v_bfe_u32 v16, v4, 21, 1
	v_mov_b32_e32 v17, v55
	s_delay_alu instid0(VALU_DEP_1) | instskip(NEXT) | instid1(VALU_DEP_1)
	v_add_nc_u64_e32 v[16:17], v[4:5], v[16:17]
	v_add_nc_u64_e32 v[16:17], -1, v[16:17]
; %bb.371:                              ;   in Loop: Header=BB2_130 Depth=3
	s_or_b32 exec_lo, exec_lo, s24
	v_add_nc_u32_e32 v5, 0xffffff81, v74
	v_lshrrev_b32_e32 v17, 23, v4
	s_mov_b32 s8, exec_lo
	s_delay_alu instid0(VALU_DEP_2) | instskip(NEXT) | instid1(VALU_DEP_1)
	v_cndmask_b32_e64 v5, v5, 0xffffff82, vcc_lo
	v_add3_u32 v17, v75, v5, v17
	v_and_b32_e32 v5, 0x1fffff, v16
                                        ; implicit-def: $vgpr16
	s_delay_alu instid0(VALU_DEP_1) | instskip(SKIP_1) | instid1(VALU_DEP_2)
	v_dual_add_nc_u32 v74, 14, v17 :: v_dual_add_nc_u32 v4, v5, v4
	v_mov_b32_e32 v5, v55
	v_cmpx_ne_u32_e32 0, v74
	s_xor_b32 s8, exec_lo, s8
; %bb.372:                              ;   in Loop: Header=BB2_130 Depth=3
	s_delay_alu instid0(VALU_DEP_2) | instskip(SKIP_2) | instid1(VALU_DEP_2)
	v_cmp_lt_u64_e32 vcc_lo, 0xffffff, v[4:5]
	v_add_nc_u32_e32 v16, 15, v17
	v_cndmask_b32_e64 v17, 0, 1, vcc_lo
	v_cndmask_b32_e32 v16, v74, v16, vcc_lo
	s_delay_alu instid0(VALU_DEP_2)
	v_lshrrev_b64 v[4:5], v17, v[4:5]
; %bb.373:                              ;   in Loop: Header=BB2_130 Depth=3
	s_and_not1_saveexec_b32 s8, s8
; %bb.374:                              ;   in Loop: Header=BB2_130 Depth=3
	s_delay_alu instid0(VALU_DEP_1)
	v_bfe_u32 v16, v4, 23, 1
; %bb.375:                              ;   in Loop: Header=BB2_130 Depth=3
	s_or_b32 exec_lo, exec_lo, s8
	s_delay_alu instid0(VALU_DEP_2) | instskip(NEXT) | instid1(VALU_DEP_2)
	v_lshrrev_b64 v[4:5], 21, v[4:5]
	v_cmp_gt_i32_e32 vcc_lo, 32, v16
	v_min_i32_e32 v17, 31, v16
	v_cmp_eq_u32_e64 s8, 0, v16
	s_delay_alu instid0(VALU_DEP_4) | instskip(NEXT) | instid1(VALU_DEP_3)
	v_cndmask_b32_e32 v5, 0, v5, vcc_lo
	v_dual_cndmask_b32 v4, 3, v4 :: v_dual_lshlrev_b32 v17, 2, v17
	s_delay_alu instid0(VALU_DEP_1) | instskip(NEXT) | instid1(VALU_DEP_2)
	v_and_b32_e32 v17, 0xfc, v17
	v_cmp_eq_u64_e32 vcc_lo, 0, v[4:5]
	s_delay_alu instid0(VALU_DEP_2)
	v_and_or_b32 v4, v4, 3, v17
	s_and_b32 s8, s8, vcc_lo
	s_delay_alu instid0(VALU_DEP_1) | instid1(SALU_CYCLE_1)
	v_cndmask_b32_e64 v4, v4, 0, s8
	s_delay_alu instid0(VALU_DEP_1)
	v_or_b32_e32 v74, v4, v2
.LBB2_376:                              ;   in Loop: Header=BB2_130 Depth=3
	s_or_b32 exec_lo, exec_lo, s23
                                        ; implicit-def: $vgpr2
.LBB2_377:                              ;   in Loop: Header=BB2_130 Depth=3
	s_and_not1_saveexec_b32 s8, s22
; %bb.378:                              ;   in Loop: Header=BB2_130 Depth=3
	v_or_b32_e32 v74, 0x7b, v2
; %bb.379:                              ;   in Loop: Header=BB2_130 Depth=3
	s_or_b32 exec_lo, exec_lo, s8
                                        ; implicit-def: $vgpr16
                                        ; implicit-def: $vgpr4_vgpr5
                                        ; implicit-def: $vgpr2
.LBB2_380:                              ;   in Loop: Header=BB2_130 Depth=3
	s_and_not1_saveexec_b32 s8, s21
	s_cbranch_execz .LBB2_386
; %bb.381:                              ;   in Loop: Header=BB2_130 Depth=3
	s_mov_b32 s21, exec_lo
                                        ; implicit-def: $vgpr74
	v_cmpx_ne_u64_e32 0, v[4:5]
	s_xor_b32 s21, exec_lo, s21
; %bb.382:                              ;   in Loop: Header=BB2_130 Depth=3
	v_or_b32_e32 v74, 0x7f, v2
                                        ; implicit-def: $vgpr16
; %bb.383:                              ;   in Loop: Header=BB2_130 Depth=3
	s_and_not1_saveexec_b32 s21, s21
; %bb.384:                              ;   in Loop: Header=BB2_130 Depth=3
	v_cmp_lt_i32_e32 vcc_lo, -1, v16
	v_cndmask_b32_e32 v74, 0xfc, v58, vcc_lo
; %bb.385:                              ;   in Loop: Header=BB2_130 Depth=3
	s_or_b32 exec_lo, exec_lo, s21
.LBB2_386:                              ;   in Loop: Header=BB2_130 Depth=3
	s_delay_alu instid0(SALU_CYCLE_1) | instskip(SKIP_3) | instid1(VALU_DEP_2)
	s_or_b32 exec_lo, exec_lo, s8
	v_dual_lshrrev_b32 v2, 16, v18 :: v_dual_mov_b32 v4, 0
	v_mov_b32_e32 v5, 0
	s_mov_b32 s8, exec_lo
	v_and_b32_e32 v16, 0xff, v2
	s_delay_alu instid0(VALU_DEP_1)
	v_cmpx_ne_u16_e32 0, v16
	s_cbranch_execz .LBB2_396
; %bb.387:                              ;   in Loop: Header=BB2_130 Depth=3
	v_bfrev_b32_e32 v5, 1
	s_mov_b32 s21, exec_lo
	v_cmpx_ne_u16_e32 0x80, v16
	s_cbranch_execz .LBB2_395
; %bb.388:                              ;   in Loop: Header=BB2_130 Depth=3
	v_and_b32_e32 v5, 0x7c0000, v18
	v_bfe_u32 v16, v18, 16, 2
	s_delay_alu instid0(VALU_DEP_2) | instskip(SKIP_1) | instid1(SALU_CYCLE_1)
	v_cmp_ne_u32_e32 vcc_lo, 0x7c0000, v5
                                        ; implicit-def: $vgpr5
	s_and_saveexec_b32 s22, vcc_lo
	s_xor_b32 s22, exec_lo, s22
	s_cbranch_execz .LBB2_392
; %bb.389:                              ;   in Loop: Header=BB2_130 Depth=3
	v_bfe_u32 v5, v18, 18, 5
	s_mov_b32 s23, exec_lo
	s_delay_alu instid0(VALU_DEP_1)
	v_cmpx_eq_u32_e32 0, v5
; %bb.390:                              ;   in Loop: Header=BB2_130 Depth=3
	v_clz_i32_u32_e32 v5, v16
	s_delay_alu instid0(VALU_DEP_1) | instskip(NEXT) | instid1(VALU_DEP_1)
	v_min_u32_e32 v5, 32, v5
	v_subrev_nc_u32_e32 v16, 29, v5
	s_delay_alu instid0(VALU_DEP_1) | instskip(NEXT) | instid1(VALU_DEP_1)
	v_lshlrev_b64_e32 v[16:17], v16, v[2:3]
	v_dual_sub_nc_u32 v5, 30, v5 :: v_dual_bitop2_b32 v16, 3, v16 bitop3:0x40
; %bb.391:                              ;   in Loop: Header=BB2_130 Depth=3
	s_or_b32 exec_lo, exec_lo, s23
	v_lshlrev_b32_e32 v2, 24, v2
	s_delay_alu instid0(VALU_DEP_1) | instskip(NEXT) | instid1(VALU_DEP_1)
	v_and_b32_e32 v2, 0x80000000, v2
	v_lshl_add_u32 v2, v5, 23, v2
	s_delay_alu instid0(VALU_DEP_1) | instskip(NEXT) | instid1(VALU_DEP_1)
	v_lshl_or_b32 v2, v16, 21, v2
                                        ; implicit-def: $vgpr16
	v_add_nc_u32_e32 v5, 0x38000000, v2
                                        ; implicit-def: $vgpr2
.LBB2_392:                              ;   in Loop: Header=BB2_130 Depth=3
	s_and_not1_saveexec_b32 s22, s22
; %bb.393:                              ;   in Loop: Header=BB2_130 Depth=3
	v_bfe_i32 v2, v2, 0, 8
	s_delay_alu instid0(VALU_DEP_1) | instskip(SKIP_2) | instid1(VALU_DEP_2)
	v_cmp_lt_i16_e32 vcc_lo, -1, v2
	v_cndmask_b32_e32 v2, 0xff800000, v21, vcc_lo
	v_cmp_eq_u32_e32 vcc_lo, 0, v16
	v_cndmask_b32_e32 v5, 0x7f800001, v2, vcc_lo
; %bb.394:                              ;   in Loop: Header=BB2_130 Depth=3
	s_or_b32 exec_lo, exec_lo, s22
.LBB2_395:                              ;   in Loop: Header=BB2_130 Depth=3
	s_delay_alu instid0(SALU_CYCLE_1)
	s_or_b32 exec_lo, exec_lo, s21
.LBB2_396:                              ;   in Loop: Header=BB2_130 Depth=3
	s_delay_alu instid0(SALU_CYCLE_1) | instskip(SKIP_2) | instid1(VALU_DEP_1)
	s_or_b32 exec_lo, exec_lo, s8
	v_lshrrev_b32_e32 v2, 16, v54
	s_mov_b32 s8, exec_lo
	v_and_b32_e32 v16, 0xff, v2
	s_delay_alu instid0(VALU_DEP_1)
	v_cmpx_ne_u16_e32 0, v16
	s_cbranch_execz .LBB2_406
; %bb.397:                              ;   in Loop: Header=BB2_130 Depth=3
	v_bfrev_b32_e32 v4, 1
	s_mov_b32 s21, exec_lo
	v_cmpx_ne_u16_e32 0x80, v16
	s_cbranch_execz .LBB2_405
; %bb.398:                              ;   in Loop: Header=BB2_130 Depth=3
	v_and_b32_e32 v4, 0x7c0000, v54
	v_bfe_u32 v16, v54, 16, 2
	s_delay_alu instid0(VALU_DEP_2) | instskip(SKIP_1) | instid1(SALU_CYCLE_1)
	v_cmp_ne_u32_e32 vcc_lo, 0x7c0000, v4
                                        ; implicit-def: $vgpr4
	s_and_saveexec_b32 s22, vcc_lo
	s_xor_b32 s22, exec_lo, s22
	s_cbranch_execz .LBB2_402
; %bb.399:                              ;   in Loop: Header=BB2_130 Depth=3
	v_bfe_u32 v4, v54, 18, 5
	s_mov_b32 s23, exec_lo
	s_delay_alu instid0(VALU_DEP_1)
	v_cmpx_eq_u32_e32 0, v4
; %bb.400:                              ;   in Loop: Header=BB2_130 Depth=3
	v_clz_i32_u32_e32 v4, v16
	s_delay_alu instid0(VALU_DEP_1) | instskip(NEXT) | instid1(VALU_DEP_1)
	v_min_u32_e32 v4, 32, v4
	v_subrev_nc_u32_e32 v16, 29, v4
	v_sub_nc_u32_e32 v4, 30, v4
	s_delay_alu instid0(VALU_DEP_2) | instskip(NEXT) | instid1(VALU_DEP_1)
	v_lshlrev_b64_e32 v[16:17], v16, v[2:3]
	v_and_b32_e32 v16, 3, v16
; %bb.401:                              ;   in Loop: Header=BB2_130 Depth=3
	s_or_b32 exec_lo, exec_lo, s23
	v_lshlrev_b32_e32 v2, 24, v2
	s_delay_alu instid0(VALU_DEP_1) | instskip(NEXT) | instid1(VALU_DEP_1)
	v_and_b32_e32 v2, 0x80000000, v2
	v_lshl_add_u32 v2, v4, 23, v2
	s_delay_alu instid0(VALU_DEP_1) | instskip(NEXT) | instid1(VALU_DEP_1)
	v_lshl_or_b32 v2, v16, 21, v2
                                        ; implicit-def: $vgpr16
	v_add_nc_u32_e32 v4, 0x38000000, v2
                                        ; implicit-def: $vgpr2
.LBB2_402:                              ;   in Loop: Header=BB2_130 Depth=3
	s_and_not1_saveexec_b32 s22, s22
; %bb.403:                              ;   in Loop: Header=BB2_130 Depth=3
	v_bfe_i32 v2, v2, 0, 8
	s_delay_alu instid0(VALU_DEP_1) | instskip(SKIP_2) | instid1(VALU_DEP_2)
	v_cmp_lt_i16_e32 vcc_lo, -1, v2
	v_cndmask_b32_e32 v2, 0xff800000, v21, vcc_lo
	v_cmp_eq_u32_e32 vcc_lo, 0, v16
	v_cndmask_b32_e32 v4, 0x7f800001, v2, vcc_lo
; %bb.404:                              ;   in Loop: Header=BB2_130 Depth=3
	s_or_b32 exec_lo, exec_lo, s22
.LBB2_405:                              ;   in Loop: Header=BB2_130 Depth=3
	s_delay_alu instid0(SALU_CYCLE_1)
	s_or_b32 exec_lo, exec_lo, s21
.LBB2_406:                              ;   in Loop: Header=BB2_130 Depth=3
	s_delay_alu instid0(SALU_CYCLE_1) | instskip(NEXT) | instid1(VALU_DEP_1)
	s_or_b32 exec_lo, exec_lo, s8
	v_dual_mul_f32 v16, v5, v4 :: v_dual_mov_b32 v77, v55
	v_mov_b32_e32 v5, v55
                                        ; implicit-def: $vgpr75
	s_mov_b32 s8, exec_lo
	s_delay_alu instid0(VALU_DEP_2) | instskip(SKIP_2) | instid1(VALU_DEP_3)
	v_and_b32_e32 v76, 0x7f800000, v16
	v_and_b32_e32 v4, 0x7fffff, v16
	v_lshrrev_b32_e32 v2, 24, v16
	v_cmpx_ne_u64_e32 0x7f800000, v[76:77]
	s_xor_b32 s21, exec_lo, s8
	s_cbranch_execz .LBB2_420
; %bb.407:                              ;   in Loop: Header=BB2_130 Depth=3
	v_and_b32_e32 v76, 0x7fffffff, v16
	v_mov_b32_e32 v77, v55
	v_and_b32_e32 v2, 0x80, v2
                                        ; implicit-def: $vgpr75
	s_mov_b32 s8, exec_lo
	s_delay_alu instid0(VALU_DEP_2)
	v_cmpx_gt_u64_e32 0x47600001, v[76:77]
	s_xor_b32 s22, exec_lo, s8
	s_cbranch_execz .LBB2_417
; %bb.408:                              ;   in Loop: Header=BB2_130 Depth=3
	v_mov_b32_e32 v75, 0
	s_mov_b32 s23, exec_lo
	v_cmpx_ne_u32_e32 0, v16
	s_cbranch_execz .LBB2_416
; %bb.409:                              ;   in Loop: Header=BB2_130 Depth=3
	v_bfe_u32 v75, v16, 23, 8
	v_or_b32_e32 v77, 0x800000, v4
	s_delay_alu instid0(VALU_DEP_2) | instskip(SKIP_1) | instid1(VALU_DEP_2)
	v_sub_nc_u32_e32 v16, 0x71, v75
	v_cmp_gt_u32_e32 vcc_lo, 0x72, v75
	v_cndmask_b32_e32 v16, 0, v16, vcc_lo
	v_cmp_eq_u32_e32 vcc_lo, 0, v75
	s_delay_alu instid0(VALU_DEP_2) | instskip(SKIP_1) | instid1(VALU_DEP_2)
	v_cndmask_b32_e64 v76, v16, 0x70, vcc_lo
	v_cndmask_b32_e32 v4, v77, v4, vcc_lo
	v_dual_add_nc_u32 v16, 21, v76 :: v_dual_add_nc_u32 v78, 20, v76
	s_delay_alu instid0(VALU_DEP_1) | instskip(NEXT) | instid1(VALU_DEP_2)
	v_lshlrev_b64_e64 v[16:17], v16, -1
	v_lshlrev_b64_e64 v[78:79], v78, 1
	s_delay_alu instid0(VALU_DEP_2) | instskip(SKIP_1) | instid1(VALU_DEP_4)
	v_bfi_b32 v16, v16, 0, v4
	v_lshrrev_b64 v[4:5], v76, v[4:5]
	v_bfi_b32 v17, v17, 0, 0
	s_delay_alu instid0(VALU_DEP_1) | instskip(NEXT) | instid1(VALU_DEP_3)
	v_cmp_eq_u64_e64 s8, v[16:17], v[78:79]
	v_mov_b64_e32 v[16:17], v[4:5]
	s_and_saveexec_b32 s24, s8
; %bb.410:                              ;   in Loop: Header=BB2_130 Depth=3
	v_bfe_u32 v16, v4, 21, 1
	v_mov_b32_e32 v17, v55
	s_delay_alu instid0(VALU_DEP_1) | instskip(NEXT) | instid1(VALU_DEP_1)
	v_add_nc_u64_e32 v[16:17], v[4:5], v[16:17]
	v_add_nc_u64_e32 v[16:17], -1, v[16:17]
; %bb.411:                              ;   in Loop: Header=BB2_130 Depth=3
	s_or_b32 exec_lo, exec_lo, s24
	v_add_nc_u32_e32 v5, 0xffffff81, v75
	v_lshrrev_b32_e32 v17, 23, v4
	s_mov_b32 s8, exec_lo
	s_delay_alu instid0(VALU_DEP_2) | instskip(NEXT) | instid1(VALU_DEP_1)
	v_cndmask_b32_e64 v5, v5, 0xffffff82, vcc_lo
	v_add3_u32 v17, v76, v5, v17
	v_and_b32_e32 v5, 0x1fffff, v16
                                        ; implicit-def: $vgpr16
	s_delay_alu instid0(VALU_DEP_1) | instskip(SKIP_1) | instid1(VALU_DEP_2)
	v_dual_add_nc_u32 v75, 14, v17 :: v_dual_add_nc_u32 v4, v5, v4
	v_mov_b32_e32 v5, v55
	v_cmpx_ne_u32_e32 0, v75
	s_xor_b32 s8, exec_lo, s8
; %bb.412:                              ;   in Loop: Header=BB2_130 Depth=3
	s_delay_alu instid0(VALU_DEP_2) | instskip(SKIP_2) | instid1(VALU_DEP_2)
	v_cmp_lt_u64_e32 vcc_lo, 0xffffff, v[4:5]
	v_add_nc_u32_e32 v16, 15, v17
	v_cndmask_b32_e64 v17, 0, 1, vcc_lo
	v_cndmask_b32_e32 v16, v75, v16, vcc_lo
	s_delay_alu instid0(VALU_DEP_2)
	v_lshrrev_b64 v[4:5], v17, v[4:5]
; %bb.413:                              ;   in Loop: Header=BB2_130 Depth=3
	s_and_not1_saveexec_b32 s8, s8
; %bb.414:                              ;   in Loop: Header=BB2_130 Depth=3
	s_delay_alu instid0(VALU_DEP_1)
	v_bfe_u32 v16, v4, 23, 1
; %bb.415:                              ;   in Loop: Header=BB2_130 Depth=3
	s_or_b32 exec_lo, exec_lo, s8
	s_delay_alu instid0(VALU_DEP_2) | instskip(NEXT) | instid1(VALU_DEP_2)
	v_lshrrev_b64 v[4:5], 21, v[4:5]
	v_cmp_gt_i32_e32 vcc_lo, 32, v16
	v_min_i32_e32 v17, 31, v16
	v_cmp_eq_u32_e64 s8, 0, v16
	s_delay_alu instid0(VALU_DEP_4) | instskip(NEXT) | instid1(VALU_DEP_3)
	v_cndmask_b32_e32 v5, 0, v5, vcc_lo
	v_dual_cndmask_b32 v4, 3, v4 :: v_dual_lshlrev_b32 v17, 2, v17
	s_delay_alu instid0(VALU_DEP_1) | instskip(NEXT) | instid1(VALU_DEP_2)
	v_and_b32_e32 v17, 0xfc, v17
	v_cmp_eq_u64_e32 vcc_lo, 0, v[4:5]
	s_delay_alu instid0(VALU_DEP_2)
	v_and_or_b32 v4, v4, 3, v17
	s_and_b32 s8, s8, vcc_lo
	s_delay_alu instid0(VALU_DEP_1) | instid1(SALU_CYCLE_1)
	v_cndmask_b32_e64 v4, v4, 0, s8
	s_delay_alu instid0(VALU_DEP_1)
	v_or_b32_e32 v75, v4, v2
.LBB2_416:                              ;   in Loop: Header=BB2_130 Depth=3
	s_or_b32 exec_lo, exec_lo, s23
                                        ; implicit-def: $vgpr2
.LBB2_417:                              ;   in Loop: Header=BB2_130 Depth=3
	s_and_not1_saveexec_b32 s8, s22
; %bb.418:                              ;   in Loop: Header=BB2_130 Depth=3
	v_or_b32_e32 v75, 0x7b, v2
; %bb.419:                              ;   in Loop: Header=BB2_130 Depth=3
	s_or_b32 exec_lo, exec_lo, s8
                                        ; implicit-def: $vgpr16
                                        ; implicit-def: $vgpr4_vgpr5
                                        ; implicit-def: $vgpr2
.LBB2_420:                              ;   in Loop: Header=BB2_130 Depth=3
	s_and_not1_saveexec_b32 s8, s21
	s_cbranch_execz .LBB2_426
; %bb.421:                              ;   in Loop: Header=BB2_130 Depth=3
	s_mov_b32 s21, exec_lo
                                        ; implicit-def: $vgpr75
	v_cmpx_ne_u64_e32 0, v[4:5]
	s_xor_b32 s21, exec_lo, s21
; %bb.422:                              ;   in Loop: Header=BB2_130 Depth=3
	v_or_b32_e32 v75, 0x7f, v2
                                        ; implicit-def: $vgpr16
; %bb.423:                              ;   in Loop: Header=BB2_130 Depth=3
	s_and_not1_saveexec_b32 s21, s21
; %bb.424:                              ;   in Loop: Header=BB2_130 Depth=3
	v_cmp_lt_i32_e32 vcc_lo, -1, v16
	v_cndmask_b32_e32 v75, 0xfc, v58, vcc_lo
; %bb.425:                              ;   in Loop: Header=BB2_130 Depth=3
	s_or_b32 exec_lo, exec_lo, s21
.LBB2_426:                              ;   in Loop: Header=BB2_130 Depth=3
	s_delay_alu instid0(SALU_CYCLE_1) | instskip(SKIP_3) | instid1(VALU_DEP_2)
	s_or_b32 exec_lo, exec_lo, s8
	v_dual_mov_b32 v4, v55 :: v_dual_mov_b32 v5, v18
	v_dual_mov_b32 v16, 0 :: v_dual_mov_b32 v17, 0
	s_mov_b32 s8, exec_lo
	v_cmpx_lt_u64_e64 s[12:13], v[4:5]
	s_cbranch_execz .LBB2_436
; %bb.427:                              ;   in Loop: Header=BB2_130 Depth=3
	v_lshrrev_b32_e32 v2, 24, v18
	v_bfrev_b32_e32 v17, 1
	s_mov_b32 s21, exec_lo
	s_delay_alu instid0(VALU_DEP_2)
	v_cmpx_ne_u32_e32 0x80, v2
	s_cbranch_execz .LBB2_435
; %bb.428:                              ;   in Loop: Header=BB2_130 Depth=3
	v_and_b32_e32 v17, 0x7c000000, v18
	v_bfe_u32 v76, v18, 24, 2
	s_delay_alu instid0(VALU_DEP_2) | instskip(SKIP_1) | instid1(SALU_CYCLE_1)
	v_cmp_ne_u32_e32 vcc_lo, 0x7c000000, v17
                                        ; implicit-def: $vgpr17
	s_and_saveexec_b32 s22, vcc_lo
	s_xor_b32 s22, exec_lo, s22
	s_cbranch_execz .LBB2_432
; %bb.429:                              ;   in Loop: Header=BB2_130 Depth=3
	v_bfe_u32 v4, v18, 26, 5
	s_mov_b32 s23, exec_lo
	s_delay_alu instid0(VALU_DEP_1)
	v_cmpx_eq_u32_e32 0, v4
; %bb.430:                              ;   in Loop: Header=BB2_130 Depth=3
	v_clz_i32_u32_e32 v4, v76
	s_delay_alu instid0(VALU_DEP_1) | instskip(NEXT) | instid1(VALU_DEP_1)
	v_min_u32_e32 v4, 32, v4
	v_subrev_nc_u32_e32 v5, 29, v4
	v_sub_nc_u32_e32 v4, 30, v4
	s_delay_alu instid0(VALU_DEP_2) | instskip(NEXT) | instid1(VALU_DEP_1)
	v_lshlrev_b64_e32 v[76:77], v5, v[2:3]
	v_and_b32_e32 v76, 3, v76
; %bb.431:                              ;   in Loop: Header=BB2_130 Depth=3
	s_or_b32 exec_lo, exec_lo, s23
	v_and_b32_e32 v2, 0x80000000, v18
	s_delay_alu instid0(VALU_DEP_1) | instskip(NEXT) | instid1(VALU_DEP_1)
	v_lshl_add_u32 v2, v4, 23, v2
                                        ; implicit-def: $vgpr4_vgpr5
	v_lshl_or_b32 v2, v76, 21, v2
                                        ; implicit-def: $vgpr76
	s_delay_alu instid0(VALU_DEP_1)
	v_add_nc_u32_e32 v17, 0x38000000, v2
.LBB2_432:                              ;   in Loop: Header=BB2_130 Depth=3
	s_and_not1_saveexec_b32 s22, s22
; %bb.433:                              ;   in Loop: Header=BB2_130 Depth=3
	v_cmp_lt_i64_e32 vcc_lo, -1, v[4:5]
	v_cndmask_b32_e32 v2, 0xff800000, v21, vcc_lo
	v_cmp_eq_u32_e32 vcc_lo, 0, v76
	s_delay_alu instid0(VALU_DEP_2)
	v_cndmask_b32_e32 v17, 0x7f800001, v2, vcc_lo
; %bb.434:                              ;   in Loop: Header=BB2_130 Depth=3
	s_or_b32 exec_lo, exec_lo, s22
.LBB2_435:                              ;   in Loop: Header=BB2_130 Depth=3
	s_delay_alu instid0(SALU_CYCLE_1)
	s_or_b32 exec_lo, exec_lo, s21
.LBB2_436:                              ;   in Loop: Header=BB2_130 Depth=3
	s_delay_alu instid0(SALU_CYCLE_1) | instskip(NEXT) | instid1(SALU_CYCLE_1)
	s_or_b32 exec_lo, exec_lo, s8
	s_mov_b32 s8, exec_lo
	v_cmpx_lt_u32_e32 0xffffff, v54
	s_cbranch_execz .LBB2_446
; %bb.437:                              ;   in Loop: Header=BB2_130 Depth=3
	v_lshrrev_b32_e32 v2, 24, v54
	v_bfrev_b32_e32 v16, 1
	s_mov_b32 s21, exec_lo
	s_delay_alu instid0(VALU_DEP_2)
	v_cmpx_ne_u32_e32 0x80, v2
	s_cbranch_execz .LBB2_445
; %bb.438:                              ;   in Loop: Header=BB2_130 Depth=3
	v_and_b32_e32 v5, 0x7c000000, v54
	v_bfe_u32 v4, v54, 24, 2
	s_mov_b32 s22, exec_lo
                                        ; implicit-def: $vgpr16
	s_delay_alu instid0(VALU_DEP_2)
	v_cmpx_ne_u32_e32 0x7c000000, v5
	s_xor_b32 s22, exec_lo, s22
	s_cbranch_execz .LBB2_442
; %bb.439:                              ;   in Loop: Header=BB2_130 Depth=3
	v_bfe_u32 v5, v54, 26, 5
	s_mov_b32 s23, exec_lo
	s_delay_alu instid0(VALU_DEP_1)
	v_cmpx_eq_u32_e32 0, v5
; %bb.440:                              ;   in Loop: Header=BB2_130 Depth=3
	v_clz_i32_u32_e32 v4, v4
	s_delay_alu instid0(VALU_DEP_1) | instskip(NEXT) | instid1(VALU_DEP_1)
	v_min_u32_e32 v16, 32, v4
	v_subrev_nc_u32_e32 v4, 29, v16
	s_delay_alu instid0(VALU_DEP_1) | instskip(SKIP_1) | instid1(VALU_DEP_2)
	v_lshlrev_b64_e32 v[4:5], v4, v[2:3]
	v_sub_nc_u32_e32 v5, 30, v16
	v_and_b32_e32 v4, 3, v4
; %bb.441:                              ;   in Loop: Header=BB2_130 Depth=3
	s_or_b32 exec_lo, exec_lo, s23
	v_and_b32_e32 v2, 0x80000000, v54
	s_delay_alu instid0(VALU_DEP_1) | instskip(NEXT) | instid1(VALU_DEP_1)
	v_lshl_add_u32 v2, v5, 23, v2
	v_lshl_or_b32 v2, v4, 21, v2
                                        ; implicit-def: $vgpr4
	s_delay_alu instid0(VALU_DEP_1)
	v_add_nc_u32_e32 v16, 0x38000000, v2
.LBB2_442:                              ;   in Loop: Header=BB2_130 Depth=3
	s_and_not1_saveexec_b32 s22, s22
; %bb.443:                              ;   in Loop: Header=BB2_130 Depth=3
	v_cmp_lt_i32_e32 vcc_lo, -1, v54
	v_cndmask_b32_e32 v2, 0xff800000, v21, vcc_lo
	v_cmp_eq_u32_e32 vcc_lo, 0, v4
	s_delay_alu instid0(VALU_DEP_2)
	v_cndmask_b32_e32 v16, 0x7f800001, v2, vcc_lo
; %bb.444:                              ;   in Loop: Header=BB2_130 Depth=3
	s_or_b32 exec_lo, exec_lo, s22
.LBB2_445:                              ;   in Loop: Header=BB2_130 Depth=3
	s_delay_alu instid0(SALU_CYCLE_1)
	s_or_b32 exec_lo, exec_lo, s21
.LBB2_446:                              ;   in Loop: Header=BB2_130 Depth=3
	s_delay_alu instid0(SALU_CYCLE_1) | instskip(NEXT) | instid1(VALU_DEP_1)
	s_or_b32 exec_lo, exec_lo, s8
	v_dual_mul_f32 v5, v17, v16 :: v_dual_mov_b32 v17, v55
                                        ; implicit-def: $vgpr4
	s_mov_b32 s8, exec_lo
	s_delay_alu instid0(VALU_DEP_1) | instskip(SKIP_2) | instid1(VALU_DEP_3)
	v_and_b32_e32 v16, 0x7f800000, v5
	v_and_b32_e32 v54, 0x7fffff, v5
	v_lshrrev_b32_e32 v2, 24, v5
	v_cmpx_ne_u64_e32 0x7f800000, v[16:17]
	s_xor_b32 s21, exec_lo, s8
	s_cbranch_execz .LBB2_460
; %bb.447:                              ;   in Loop: Header=BB2_130 Depth=3
	v_and_b32_e32 v16, 0x7fffffff, v5
	v_mov_b32_e32 v17, v55
	v_and_b32_e32 v2, 0x80, v2
                                        ; implicit-def: $vgpr4
	s_mov_b32 s8, exec_lo
	s_delay_alu instid0(VALU_DEP_2)
	v_cmpx_gt_u64_e32 0x47600001, v[16:17]
	s_xor_b32 s22, exec_lo, s8
	s_cbranch_execz .LBB2_457
; %bb.448:                              ;   in Loop: Header=BB2_130 Depth=3
	v_mov_b32_e32 v4, 0
	s_mov_b32 s23, exec_lo
	v_cmpx_ne_u32_e32 0, v5
	s_cbranch_execz .LBB2_456
; %bb.449:                              ;   in Loop: Header=BB2_130 Depth=3
	v_bfe_u32 v18, v5, 23, 8
	v_or_b32_e32 v16, 0x800000, v54
	s_delay_alu instid0(VALU_DEP_2) | instskip(SKIP_1) | instid1(VALU_DEP_2)
	v_sub_nc_u32_e32 v4, 0x71, v18
	v_cmp_gt_u32_e32 vcc_lo, 0x72, v18
	v_cndmask_b32_e32 v4, 0, v4, vcc_lo
	v_cmp_eq_u32_e32 vcc_lo, 0, v18
	v_cndmask_b32_e32 v54, v16, v54, vcc_lo
	s_delay_alu instid0(VALU_DEP_3) | instskip(NEXT) | instid1(VALU_DEP_1)
	v_cndmask_b32_e64 v76, v4, 0x70, vcc_lo
	v_dual_add_nc_u32 v4, 21, v76 :: v_dual_add_nc_u32 v17, 20, v76
	s_delay_alu instid0(VALU_DEP_1) | instskip(NEXT) | instid1(VALU_DEP_2)
	v_lshlrev_b64_e64 v[4:5], v4, -1
	v_lshlrev_b64_e64 v[16:17], v17, 1
	s_delay_alu instid0(VALU_DEP_2) | instskip(NEXT) | instid1(VALU_DEP_3)
	v_bfi_b32 v79, v5, 0, 0
	v_bfi_b32 v78, v4, 0, v54
	v_lshrrev_b64 v[4:5], v76, v[54:55]
	s_delay_alu instid0(VALU_DEP_2) | instskip(NEXT) | instid1(VALU_DEP_2)
	v_cmp_eq_u64_e64 s8, v[78:79], v[16:17]
	v_mov_b64_e32 v[16:17], v[4:5]
	s_and_saveexec_b32 s24, s8
; %bb.450:                              ;   in Loop: Header=BB2_130 Depth=3
	v_bfe_u32 v54, v4, 21, 1
	s_delay_alu instid0(VALU_DEP_1) | instskip(NEXT) | instid1(VALU_DEP_1)
	v_add_nc_u64_e32 v[16:17], v[4:5], v[54:55]
	v_add_nc_u64_e32 v[16:17], -1, v[16:17]
; %bb.451:                              ;   in Loop: Header=BB2_130 Depth=3
	s_or_b32 exec_lo, exec_lo, s24
	v_add_nc_u32_e32 v5, 0xffffff81, v18
	v_lshrrev_b32_e32 v17, 23, v4
	s_mov_b32 s8, exec_lo
	s_delay_alu instid0(VALU_DEP_2) | instskip(NEXT) | instid1(VALU_DEP_1)
	v_cndmask_b32_e64 v5, v5, 0xffffff82, vcc_lo
	v_add3_u32 v17, v76, v5, v17
	v_and_b32_e32 v5, 0x1fffff, v16
                                        ; implicit-def: $vgpr16
	s_delay_alu instid0(VALU_DEP_1) | instskip(NEXT) | instid1(VALU_DEP_1)
	v_dual_add_nc_u32 v18, 14, v17 :: v_dual_add_nc_u32 v54, v5, v4
                                        ; implicit-def: $vgpr4_vgpr5
	v_cmpx_ne_u32_e32 0, v18
	s_xor_b32 s8, exec_lo, s8
; %bb.452:                              ;   in Loop: Header=BB2_130 Depth=3
	s_delay_alu instid0(VALU_DEP_2) | instskip(SKIP_1) | instid1(VALU_DEP_1)
	v_cmp_lt_u64_e32 vcc_lo, 0xffffff, v[54:55]
	v_add_nc_u32_e32 v4, 15, v17
	v_cndmask_b32_e32 v16, v18, v4, vcc_lo
	v_cndmask_b32_e64 v4, 0, 1, vcc_lo
	s_delay_alu instid0(VALU_DEP_1)
	v_lshrrev_b64 v[4:5], v4, v[54:55]
; %bb.453:                              ;   in Loop: Header=BB2_130 Depth=3
	s_and_not1_saveexec_b32 s8, s8
; %bb.454:                              ;   in Loop: Header=BB2_130 Depth=3
	v_mov_b64_e32 v[4:5], v[54:55]
	v_bfe_u32 v16, v54, 23, 1
; %bb.455:                              ;   in Loop: Header=BB2_130 Depth=3
	s_or_b32 exec_lo, exec_lo, s8
	s_delay_alu instid0(VALU_DEP_2) | instskip(NEXT) | instid1(VALU_DEP_2)
	v_lshrrev_b64 v[4:5], 21, v[4:5]
	v_cmp_gt_i32_e32 vcc_lo, 32, v16
	v_min_i32_e32 v17, 31, v16
	v_cmp_eq_u32_e64 s8, 0, v16
	s_delay_alu instid0(VALU_DEP_4) | instskip(NEXT) | instid1(VALU_DEP_3)
	v_cndmask_b32_e32 v5, 0, v5, vcc_lo
	v_dual_cndmask_b32 v4, 3, v4 :: v_dual_lshlrev_b32 v17, 2, v17
	s_delay_alu instid0(VALU_DEP_1) | instskip(NEXT) | instid1(VALU_DEP_2)
	v_and_b32_e32 v17, 0xfc, v17
	v_cmp_eq_u64_e32 vcc_lo, 0, v[4:5]
	s_delay_alu instid0(VALU_DEP_2)
	v_and_or_b32 v4, v4, 3, v17
	s_and_b32 s8, s8, vcc_lo
	s_delay_alu instid0(VALU_DEP_1) | instid1(SALU_CYCLE_1)
	v_cndmask_b32_e64 v4, v4, 0, s8
	s_delay_alu instid0(VALU_DEP_1)
	v_or_b32_e32 v4, v4, v2
.LBB2_456:                              ;   in Loop: Header=BB2_130 Depth=3
	s_or_b32 exec_lo, exec_lo, s23
                                        ; implicit-def: $vgpr2
.LBB2_457:                              ;   in Loop: Header=BB2_130 Depth=3
	s_and_not1_saveexec_b32 s8, s22
; %bb.458:                              ;   in Loop: Header=BB2_130 Depth=3
	v_or_b32_e32 v4, 0x7b, v2
; %bb.459:                              ;   in Loop: Header=BB2_130 Depth=3
	s_or_b32 exec_lo, exec_lo, s8
                                        ; implicit-def: $vgpr5
                                        ; implicit-def: $vgpr2
.LBB2_460:                              ;   in Loop: Header=BB2_130 Depth=3
	s_and_not1_saveexec_b32 s8, s21
	s_cbranch_execz .LBB2_129
; %bb.461:                              ;   in Loop: Header=BB2_130 Depth=3
	s_mov_b32 s21, exec_lo
                                        ; implicit-def: $vgpr4
	v_cmpx_ne_u64_e32 0, v[54:55]
	s_xor_b32 s21, exec_lo, s21
; %bb.462:                              ;   in Loop: Header=BB2_130 Depth=3
	v_or_b32_e32 v4, 0x7f, v2
                                        ; implicit-def: $vgpr5
; %bb.463:                              ;   in Loop: Header=BB2_130 Depth=3
	s_and_not1_saveexec_b32 s21, s21
	s_cbranch_execz .LBB2_128
; %bb.464:                              ;   in Loop: Header=BB2_130 Depth=3
	v_cmp_lt_i32_e32 vcc_lo, -1, v5
	v_cndmask_b32_e32 v4, 0xfc, v58, vcc_lo
	s_branch .LBB2_128
.LBB2_465:                              ;   in Loop: Header=BB2_85 Depth=2
	s_or_b32 exec_lo, exec_lo, s20
	s_delay_alu instid0(SALU_CYCLE_1)
	s_or_b32 exec_lo, exec_lo, s19
	s_and_saveexec_b32 s8, s3
	s_cbranch_execz .LBB2_122
.LBB2_466:                              ;   in Loop: Header=BB2_85 Depth=2
	s_and_saveexec_b32 s19, s4
	s_delay_alu instid0(SALU_CYCLE_1)
	s_xor_b32 s19, exec_lo, s19
	s_cbranch_execz .LBB2_481
; %bb.467:                              ;   in Loop: Header=BB2_85 Depth=2
	s_and_saveexec_b32 s20, s5
	s_cbranch_execz .LBB2_480
; %bb.468:                              ;   in Loop: Header=BB2_85 Depth=2
	s_mov_b32 s22, exec_lo
	s_mov_b32 s21, exec_lo
	v_mbcnt_lo_u32_b32 v2, s22, 0
	global_wb scope:SCOPE_DEV
	s_wait_storecnt 0x0
	s_wait_loadcnt_dscnt 0x0
	global_inv scope:SCOPE_DEV
	v_cmpx_eq_u32_e32 0, v2
	s_cbranch_execz .LBB2_470
; %bb.469:                              ;   in Loop: Header=BB2_85 Depth=2
	s_bcnt1_i32_b32 s22, s22
	s_delay_alu instid0(SALU_CYCLE_1)
	v_mov_b32_e32 v54, s22
	s_wait_loadcnt 0x0
	ds_add_u64 v0, v[54:55]
	s_trap 2
.LBB2_470:                              ;   in Loop: Header=BB2_85 Depth=2
	s_or_b32 exec_lo, exec_lo, s21
	s_trap 2
	ds_load_b64 v[4:5], v0
	s_wait_dscnt 0x0
	v_add_nc_u64_e32 v[52:53], v[52:53], v[84:85]
	s_mov_b32 s21, exec_lo
	s_delay_alu instid0(VALU_DEP_1)
	v_cmpx_lt_u64_e64 v[4:5], v[52:53]
	s_cbranch_execz .LBB2_479
; %bb.471:                              ;   in Loop: Header=BB2_85 Depth=2
	s_mov_b32 s22, 0
	s_mov_b32 s25, 0
                                        ; implicit-def: $sgpr23
                                        ; implicit-def: $sgpr24
	s_branch .LBB2_473
.LBB2_472:                              ;   in Loop: Header=BB2_473 Depth=3
	s_or_b32 exec_lo, exec_lo, s27
	s_delay_alu instid0(SALU_CYCLE_1) | instskip(NEXT) | instid1(SALU_CYCLE_1)
	s_and_b32 s26, exec_lo, s28
	s_or_b32 s22, s26, s22
	s_and_not1_b32 s23, s23, exec_lo
	s_and_b32 s26, s24, exec_lo
	s_delay_alu instid0(SALU_CYCLE_1)
	s_or_b32 s23, s23, s26
	s_and_not1_b32 exec_lo, exec_lo, s22
	s_cbranch_execz .LBB2_477
.LBB2_473:                              ;   Parent Loop BB2_36 Depth=1
                                        ;     Parent Loop BB2_85 Depth=2
                                        ; =>    This Inner Loop Header: Depth=3
	s_add_co_i32 s25, s25, 1
	s_delay_alu instid0(SALU_CYCLE_1) | instskip(SKIP_1) | instid1(SALU_CYCLE_1)
	s_cmp_lg_u32 s25, 0x2710
	s_cselect_b32 s26, -1, 0
	s_and_b32 vcc_lo, exec_lo, s26
	s_cbranch_vccz .LBB2_475
; %bb.474:                              ;   in Loop: Header=BB2_473 Depth=3
	s_mov_b32 s28, -1
	s_or_b32 s24, s24, exec_lo
	s_and_saveexec_b32 s27, s26
	s_cbranch_execz .LBB2_472
	s_branch .LBB2_476
.LBB2_475:                              ;   in Loop: Header=BB2_473 Depth=3
	s_trap 2
	ds_load_b64 v[4:5], v0
	s_and_not1_b32 s26, s26, exec_lo
	s_mov_b32 s25, 0
	s_wait_loadcnt_dscnt 0x0
	flat_load_b32 v2, v[4:5] scope:SCOPE_SYS
	s_wait_loadcnt_dscnt 0x0
	global_inv scope:SCOPE_SYS
	v_cmp_eq_u32_e32 vcc_lo, 0, v2
	s_and_b32 s27, vcc_lo, exec_lo
	s_delay_alu instid0(SALU_CYCLE_1)
	s_or_b32 s26, s26, s27
	s_mov_b32 s28, -1
	s_or_b32 s24, s24, exec_lo
	s_and_saveexec_b32 s27, s26
	s_cbranch_execz .LBB2_472
.LBB2_476:                              ;   in Loop: Header=BB2_473 Depth=3
	s_sleep 1
	s_trap 2
	ds_load_b64 v[4:5], v0
	s_wait_dscnt 0x0
	s_and_not1_b32 s24, s24, exec_lo
	v_cmp_ge_u64_e32 vcc_lo, v[4:5], v[52:53]
	s_or_not1_b32 s28, vcc_lo, exec_lo
	s_branch .LBB2_472
.LBB2_477:                              ;   in Loop: Header=BB2_85 Depth=2
	s_or_b32 exec_lo, exec_lo, s22
	s_and_saveexec_b32 s22, s23
	s_delay_alu instid0(SALU_CYCLE_1)
	s_xor_b32 s22, exec_lo, s22
	s_cbranch_execz .LBB2_479
; %bb.478:                              ;   in Loop: Header=BB2_85 Depth=2
	ds_store_b32 v0, v1
	s_trap 2
.LBB2_479:                              ;   in Loop: Header=BB2_85 Depth=2
	s_or_b32 exec_lo, exec_lo, s21
	;;#ASMSTART
	s_wakeup
	;;#ASMEND
.LBB2_480:                              ;   in Loop: Header=BB2_85 Depth=2
	s_or_b32 exec_lo, exec_lo, s20
.LBB2_481:                              ;   in Loop: Header=BB2_85 Depth=2
	s_and_not1_saveexec_b32 s19, s19
	s_cbranch_execz .LBB2_483
; %bb.482:                              ;   in Loop: Header=BB2_85 Depth=2
	global_wb scope:SCOPE_DEV
	s_wait_storecnt 0x0
	s_wait_loadcnt_dscnt 0x0
	global_inv scope:SCOPE_DEV
	s_barrier_signal -1
	s_barrier_wait -1
.LBB2_483:                              ;   in Loop: Header=BB2_85 Depth=2
	s_or_b32 exec_lo, exec_lo, s19
	s_delay_alu instid0(SALU_CYCLE_1)
	s_or_b32 exec_lo, exec_lo, s8
	s_and_saveexec_b32 s8, s6
	s_cbranch_execnz .LBB2_123
	s_branch .LBB2_124
.LBB2_484:                              ;   in Loop: Header=BB2_36 Depth=1
	s_delay_alu instid0(VALU_DEP_1)
	v_mov_b64_e32 v[16:17], v[114:115]
	s_and_saveexec_b32 s8, s7
	s_cbranch_execnz .LBB2_487
; %bb.485:                              ;   in Loop: Header=BB2_36 Depth=1
	s_or_b32 exec_lo, exec_lo, s8
	s_and_saveexec_b32 s7, s3
	s_cbranch_execnz .LBB2_844
.LBB2_486:                              ;   in Loop: Header=BB2_36 Depth=1
	s_or_b32 exec_lo, exec_lo, s7
	s_and_saveexec_b32 s7, s6
	s_cbranch_execz .LBB2_35
	s_branch .LBB2_862
.LBB2_487:                              ;   in Loop: Header=BB2_36 Depth=1
	s_wait_loadcnt_dscnt 0x0
	flat_load_b32 v4, v[22:23]
	v_add_nc_u64_e32 v[2:3], v[10:11], v[112:113]
	v_dual_mov_b32 v116, v0 :: v_dual_bitop2_b32 v5, 7, v34 bitop3:0x40
	s_mov_b32 s18, 0
	v_add_nc_u32_e32 v42, 1, v34
	s_wait_loadcnt_dscnt 0x0
	s_delay_alu instid0(VALU_DEP_3) | instskip(SKIP_1) | instid1(VALU_DEP_2)
	v_mad_nc_u64_u32 v[2:3], v68, v4, v[2:3]
	v_ashrrev_i32_e32 v18, 31, v4
	v_mad_u32 v3, v69, v4, v3
	v_mul_lo_u32 v4, v5, s15
	s_delay_alu instid0(VALU_DEP_2) | instskip(NEXT) | instid1(VALU_DEP_2)
	v_mad_u32 v3, v68, v18, v3
	v_ashrrev_i32_e32 v5, 31, v4
	v_add_nc_u64_e32 v[18:19], v[8:9], v[112:113]
	s_delay_alu instid0(VALU_DEP_2) | instskip(NEXT) | instid1(VALU_DEP_4)
	v_lshl_add_u64 v[114:115], v[4:5], 4, v[32:33]
	v_add_nc_u64_e32 v[112:113], v[2:3], v[82:83]
	s_branch .LBB2_489
.LBB2_488:                              ;   in Loop: Header=BB2_489 Depth=2
	v_sub_nc_u32_e32 v60, v60, v86
	v_add_nc_u64_e32 v[112:113], v[112:113], v[86:87]
	s_wait_xcnt 0x0
	v_add_nc_u64_e32 v[18:19], v[18:19], v[86:87]
	v_add_nc_u32_e32 v116, v116, v20
	v_cmp_gt_i32_e32 vcc_lo, 1, v60
	s_or_b32 s18, vcc_lo, s18
	s_delay_alu instid0(SALU_CYCLE_1)
	s_and_not1_b32 exec_lo, exec_lo, s18
	s_cbranch_execz .LBB2_843
.LBB2_489:                              ;   Parent Loop BB2_36 Depth=1
                                        ; =>  This Loop Header: Depth=2
                                        ;       Child Loop BB2_497 Depth 3
	s_delay_alu instid0(VALU_DEP_1)
	v_dual_mov_b32 v3, v113 :: v_dual_bitop2_b32 v2, -4, v112 bitop3:0x40
	v_min_u32_e32 v4, 8, v60
	v_dual_mov_b32 v44, 0 :: v_dual_bitop2_b32 v5, 3, v112 bitop3:0x40
	v_mov_b32_e32 v45, 0
	global_load_b32 v30, v[2:3], off th:TH_LOAD_NT
	s_mov_b32 s7, exec_lo
	v_add_nc_u32_e32 v54, v5, v4
	s_wait_xcnt 0x0
	s_delay_alu instid0(VALU_DEP_1)
	v_cmpx_lt_u32_e32 4, v54
	s_cbranch_execz .LBB2_491
; %bb.490:                              ;   in Loop: Header=BB2_489 Depth=2
	global_load_b32 v45, v[2:3], off offset:4 th:TH_LOAD_NT
.LBB2_491:                              ;   in Loop: Header=BB2_489 Depth=2
	s_wait_xcnt 0x0
	s_or_b32 exec_lo, exec_lo, s7
	s_delay_alu instid0(SALU_CYCLE_1)
	s_mov_b32 s7, exec_lo
	v_cmpx_lt_u64_e32 8, v[54:55]
	s_cbranch_execz .LBB2_493
; %bb.492:                              ;   in Loop: Header=BB2_489 Depth=2
	global_load_b32 v44, v[2:3], off offset:8 th:TH_LOAD_NT
.LBB2_493:                              ;   in Loop: Header=BB2_489 Depth=2
	s_wait_xcnt 0x0
	s_or_b32 exec_lo, exec_lo, s7
	v_ashrrev_i32_e32 v117, 31, v116
	s_mov_b32 s19, exec_lo
	s_delay_alu instid0(VALU_DEP_1)
	v_lshl_add_u64 v[118:119], v[116:117], 4, v[114:115]
	global_load_b128 v[2:5], v[118:119], off th:TH_LOAD_NT
	s_wait_xcnt 0x0
	v_cmpx_eq_u32_e32 0, v59
	s_cbranch_execz .LBB2_505
; %bb.494:                              ;   in Loop: Header=BB2_489 Depth=2
	s_wait_loadcnt 0x0
	v_cmp_ne_u32_e32 vcc_lo, v42, v3
	v_cmp_ne_u32_e64 s7, v42, v5
	v_mov_b32_e32 v59, 0
	s_or_b32 s7, vcc_lo, s7
	s_delay_alu instid0(SALU_CYCLE_1)
	s_and_saveexec_b32 s20, s7
	s_cbranch_execz .LBB2_504
; %bb.495:                              ;   in Loop: Header=BB2_489 Depth=2
	s_mov_b32 s24, 1
	s_mov_b32 s22, 0
                                        ; implicit-def: $sgpr21
                                        ; implicit-def: $sgpr23
	s_branch .LBB2_497
.LBB2_496:                              ;   in Loop: Header=BB2_497 Depth=3
	s_or_b32 exec_lo, exec_lo, s26
	s_delay_alu instid0(SALU_CYCLE_1) | instskip(NEXT) | instid1(SALU_CYCLE_1)
	s_and_b32 s7, exec_lo, s7
	s_or_b32 s22, s7, s22
	s_and_not1_b32 s7, s21, exec_lo
	s_and_b32 s21, s23, exec_lo
	s_delay_alu instid0(SALU_CYCLE_1)
	s_or_b32 s21, s7, s21
	s_and_not1_b32 exec_lo, exec_lo, s22
	s_cbranch_execz .LBB2_501
.LBB2_497:                              ;   Parent Loop BB2_36 Depth=1
                                        ;     Parent Loop BB2_489 Depth=2
                                        ; =>    This Inner Loop Header: Depth=3
	s_wait_loadcnt 0x0
	global_load_b128 v[2:5], v[118:119], off th:TH_LOAD_NT
	s_add_co_i32 s24, s24, 1
	s_mov_b32 s7, -1
	s_cmp_lg_u32 s24, 0x2710
	s_mov_b32 s25, -1
                                        ; implicit-def: $vgpr54
	s_cbranch_scc0 .LBB2_499
; %bb.498:                              ;   in Loop: Header=BB2_497 Depth=3
	s_or_b32 s23, s23, exec_lo
	s_wait_xcnt 0x0
	s_and_saveexec_b32 s26, s25
	s_cbranch_execz .LBB2_496
	s_branch .LBB2_500
.LBB2_499:                              ;   in Loop: Header=BB2_497 Depth=3
	s_trap 2
	ds_load_b64 v[40:41], v0
	s_mov_b32 s24, 0
	s_wait_storecnt 0x0
	s_wait_loadcnt_dscnt 0x0
	flat_load_b32 v54, v[40:41] scope:SCOPE_SYS
	s_wait_loadcnt_dscnt 0x0
	global_inv scope:SCOPE_SYS
	v_cmp_eq_u32_e32 vcc_lo, 0, v54
	s_or_not1_b32 s25, vcc_lo, exec_lo
	s_or_b32 s23, s23, exec_lo
	s_wait_xcnt 0x0
	s_and_saveexec_b32 s26, s25
	s_cbranch_execz .LBB2_496
.LBB2_500:                              ;   in Loop: Header=BB2_497 Depth=3
	s_wait_loadcnt 0x0
	v_cmp_eq_u32_e32 vcc_lo, v42, v3
	v_cmp_eq_u32_e64 s7, v42, v5
	s_and_not1_b32 s23, s23, exec_lo
	s_and_b32 s7, vcc_lo, s7
	s_delay_alu instid0(SALU_CYCLE_1)
	s_or_not1_b32 s7, s7, exec_lo
	s_branch .LBB2_496
.LBB2_501:                              ;   in Loop: Header=BB2_489 Depth=2
	s_or_b32 exec_lo, exec_lo, s22
	v_mov_b32_e32 v59, 0
	s_and_saveexec_b32 s7, s21
	s_delay_alu instid0(SALU_CYCLE_1)
	s_xor_b32 s7, exec_lo, s7
	s_cbranch_execz .LBB2_503
; %bb.502:                              ;   in Loop: Header=BB2_489 Depth=2
	v_mov_b32_e32 v59, 1
	s_wait_loadcnt 0x0
	s_wait_storecnt 0x0
	ds_store_b32 v0, v54
	s_trap 2
.LBB2_503:                              ;   in Loop: Header=BB2_489 Depth=2
	s_or_b32 exec_lo, exec_lo, s7
.LBB2_504:                              ;   in Loop: Header=BB2_489 Depth=2
	s_delay_alu instid0(SALU_CYCLE_1)
	s_or_b32 exec_lo, exec_lo, s20
.LBB2_505:                              ;   in Loop: Header=BB2_489 Depth=2
	s_delay_alu instid0(SALU_CYCLE_1) | instskip(SKIP_4) | instid1(VALU_DEP_2)
	s_or_b32 exec_lo, exec_lo, s19
	s_wait_loadcnt 0x0
	v_and_b32_e32 v54, 0xff, v2
	v_dual_mov_b32 v117, 0 :: v_dual_mov_b32 v118, 0
	s_mov_b32 s7, exec_lo
	v_cmpx_ne_u16_e32 0, v54
	s_cbranch_execz .LBB2_515
; %bb.506:                              ;   in Loop: Header=BB2_489 Depth=2
	v_bfe_i32 v119, v2, 0, 8
	v_bfrev_b32_e32 v118, 1
	s_mov_b32 s19, exec_lo
	s_delay_alu instid0(VALU_DEP_2)
	v_cmpx_ne_u16_e32 0xff80, v119
	s_cbranch_execz .LBB2_514
; %bb.507:                              ;   in Loop: Header=BB2_489 Depth=2
	v_and_b32_e32 v118, 0x7c, v2
	v_and_b32_e32 v54, 3, v2
	s_delay_alu instid0(VALU_DEP_2) | instskip(SKIP_1) | instid1(SALU_CYCLE_1)
	v_cmp_ne_u32_e32 vcc_lo, 0x7c, v118
                                        ; implicit-def: $vgpr118
	s_and_saveexec_b32 s20, vcc_lo
	s_xor_b32 s20, exec_lo, s20
	s_cbranch_execz .LBB2_511
; %bb.508:                              ;   in Loop: Header=BB2_489 Depth=2
	v_bfe_u32 v118, v2, 2, 5
	s_mov_b32 s21, exec_lo
	s_delay_alu instid0(VALU_DEP_1)
	v_cmpx_eq_u32_e32 0, v118
; %bb.509:                              ;   in Loop: Header=BB2_489 Depth=2
	v_clz_i32_u32_e32 v54, v54
	s_delay_alu instid0(VALU_DEP_1) | instskip(NEXT) | instid1(VALU_DEP_1)
	v_min_u32_e32 v54, 32, v54
	v_subrev_nc_u32_e32 v118, 29, v54
	s_delay_alu instid0(VALU_DEP_1) | instskip(NEXT) | instid1(VALU_DEP_1)
	v_lshlrev_b64_e32 v[40:41], v118, v[2:3]
	v_dual_sub_nc_u32 v118, 30, v54 :: v_dual_bitop2_b32 v54, 3, v40 bitop3:0x40
; %bb.510:                              ;   in Loop: Header=BB2_489 Depth=2
	s_or_b32 exec_lo, exec_lo, s21
	v_lshlrev_b32_e32 v3, 24, v2
                                        ; implicit-def: $vgpr119
	s_delay_alu instid0(VALU_DEP_1) | instskip(NEXT) | instid1(VALU_DEP_1)
	v_and_b32_e32 v3, 0x80000000, v3
	v_lshl_add_u32 v3, v118, 23, v3
	s_delay_alu instid0(VALU_DEP_1) | instskip(NEXT) | instid1(VALU_DEP_1)
	v_lshl_or_b32 v3, v54, 21, v3
                                        ; implicit-def: $vgpr54
	v_add_nc_u32_e32 v118, 0x38000000, v3
.LBB2_511:                              ;   in Loop: Header=BB2_489 Depth=2
	s_and_not1_saveexec_b32 s20, s20
; %bb.512:                              ;   in Loop: Header=BB2_489 Depth=2
	v_cmp_lt_i16_e32 vcc_lo, -1, v119
	v_cndmask_b32_e32 v3, 0xff800000, v21, vcc_lo
	v_cmp_eq_u32_e32 vcc_lo, 0, v54
	s_delay_alu instid0(VALU_DEP_2)
	v_cndmask_b32_e32 v118, 0x7f800001, v3, vcc_lo
; %bb.513:                              ;   in Loop: Header=BB2_489 Depth=2
	s_or_b32 exec_lo, exec_lo, s20
.LBB2_514:                              ;   in Loop: Header=BB2_489 Depth=2
	s_delay_alu instid0(SALU_CYCLE_1)
	s_or_b32 exec_lo, exec_lo, s19
.LBB2_515:                              ;   in Loop: Header=BB2_489 Depth=2
	s_delay_alu instid0(SALU_CYCLE_1) | instskip(SKIP_2) | instid1(VALU_DEP_1)
	s_or_b32 exec_lo, exec_lo, s7
	v_lshlrev_b32_e32 v46, 3, v112
	s_mov_b32 s7, exec_lo
	v_alignbit_b32 v54, v45, v30, v46
	s_delay_alu instid0(VALU_DEP_1) | instskip(NEXT) | instid1(VALU_DEP_1)
	v_and_b32_e32 v3, 0xff, v54
	v_cmpx_ne_u16_e32 0, v3
	s_cbranch_execz .LBB2_525
; %bb.516:                              ;   in Loop: Header=BB2_489 Depth=2
	v_bfe_i32 v30, v54, 0, 8
	v_bfrev_b32_e32 v117, 1
	s_mov_b32 s19, exec_lo
	s_delay_alu instid0(VALU_DEP_2)
	v_cmpx_ne_u16_e32 0xff80, v30
	s_cbranch_execz .LBB2_524
; %bb.517:                              ;   in Loop: Header=BB2_489 Depth=2
	v_and_b32_e32 v117, 0x7c, v54
	v_and_b32_e32 v3, 3, v54
	s_delay_alu instid0(VALU_DEP_2) | instskip(SKIP_1) | instid1(SALU_CYCLE_1)
	v_cmp_ne_u32_e32 vcc_lo, 0x7c, v117
                                        ; implicit-def: $vgpr117
	s_and_saveexec_b32 s20, vcc_lo
	s_xor_b32 s20, exec_lo, s20
	s_cbranch_execz .LBB2_521
; %bb.518:                              ;   in Loop: Header=BB2_489 Depth=2
	v_bfe_u32 v30, v54, 2, 5
	s_mov_b32 s21, exec_lo
	s_delay_alu instid0(VALU_DEP_1)
	v_cmpx_eq_u32_e32 0, v30
; %bb.519:                              ;   in Loop: Header=BB2_489 Depth=2
	v_clz_i32_u32_e32 v3, v3
	s_delay_alu instid0(VALU_DEP_1) | instskip(NEXT) | instid1(VALU_DEP_1)
	v_min_u32_e32 v3, 32, v3
	v_subrev_nc_u32_e32 v30, 29, v3
	s_delay_alu instid0(VALU_DEP_1) | instskip(NEXT) | instid1(VALU_DEP_1)
	v_lshlrev_b64_e32 v[40:41], v30, v[54:55]
	v_dual_sub_nc_u32 v30, 30, v3 :: v_dual_bitop2_b32 v3, 3, v40 bitop3:0x40
; %bb.520:                              ;   in Loop: Header=BB2_489 Depth=2
	s_or_b32 exec_lo, exec_lo, s21
	v_lshlrev_b32_e32 v117, 24, v54
	s_delay_alu instid0(VALU_DEP_1) | instskip(NEXT) | instid1(VALU_DEP_1)
	v_and_b32_e32 v117, 0x80000000, v117
	v_lshl_add_u32 v30, v30, 23, v117
	s_delay_alu instid0(VALU_DEP_1) | instskip(NEXT) | instid1(VALU_DEP_1)
	v_lshl_or_b32 v3, v3, 21, v30
                                        ; implicit-def: $vgpr30
	v_add_nc_u32_e32 v117, 0x38000000, v3
                                        ; implicit-def: $vgpr3
.LBB2_521:                              ;   in Loop: Header=BB2_489 Depth=2
	s_and_not1_saveexec_b32 s20, s20
; %bb.522:                              ;   in Loop: Header=BB2_489 Depth=2
	v_cmp_lt_i16_e32 vcc_lo, -1, v30
	v_cndmask_b32_e32 v30, 0xff800000, v21, vcc_lo
	v_cmp_eq_u32_e32 vcc_lo, 0, v3
	s_delay_alu instid0(VALU_DEP_2)
	v_cndmask_b32_e32 v117, 0x7f800001, v30, vcc_lo
; %bb.523:                              ;   in Loop: Header=BB2_489 Depth=2
	s_or_b32 exec_lo, exec_lo, s20
.LBB2_524:                              ;   in Loop: Header=BB2_489 Depth=2
	s_delay_alu instid0(SALU_CYCLE_1)
	s_or_b32 exec_lo, exec_lo, s19
.LBB2_525:                              ;   in Loop: Header=BB2_489 Depth=2
	s_delay_alu instid0(SALU_CYCLE_1) | instskip(NEXT) | instid1(VALU_DEP_1)
	s_or_b32 exec_lo, exec_lo, s7
	v_dual_mul_f32 v30, v118, v117 :: v_dual_mov_b32 v41, v55
	v_mov_b32_e32 v119, v55
                                        ; implicit-def: $vgpr117
	s_mov_b32 s7, exec_lo
	s_delay_alu instid0(VALU_DEP_2) | instskip(SKIP_2) | instid1(VALU_DEP_3)
	v_and_b32_e32 v40, 0x7f800000, v30
	v_and_b32_e32 v118, 0x7fffff, v30
	v_lshrrev_b32_e32 v3, 24, v30
	v_cmpx_ne_u64_e32 0x7f800000, v[40:41]
	s_xor_b32 s19, exec_lo, s7
	s_cbranch_execz .LBB2_539
; %bb.526:                              ;   in Loop: Header=BB2_489 Depth=2
	v_and_b32_e32 v40, 0x7fffffff, v30
	v_mov_b32_e32 v41, v55
	v_and_b32_e32 v3, 0x80, v3
                                        ; implicit-def: $vgpr117
	s_mov_b32 s7, exec_lo
	s_delay_alu instid0(VALU_DEP_2)
	v_cmpx_gt_u64_e32 0x47600001, v[40:41]
	s_xor_b32 s20, exec_lo, s7
	s_cbranch_execz .LBB2_536
; %bb.527:                              ;   in Loop: Header=BB2_489 Depth=2
	v_mov_b32_e32 v117, 0
	s_mov_b32 s21, exec_lo
	v_cmpx_ne_u32_e32 0, v30
	s_cbranch_execz .LBB2_535
; %bb.528:                              ;   in Loop: Header=BB2_489 Depth=2
	v_bfe_u32 v30, v30, 23, 8
	v_or_b32_e32 v43, 0x800000, v118
	s_delay_alu instid0(VALU_DEP_2) | instskip(SKIP_1) | instid1(VALU_DEP_2)
	v_sub_nc_u32_e32 v117, 0x71, v30
	v_cmp_gt_u32_e32 vcc_lo, 0x72, v30
	v_cndmask_b32_e32 v117, 0, v117, vcc_lo
	v_cmp_eq_u32_e32 vcc_lo, 0, v30
	v_cndmask_b32_e32 v118, v43, v118, vcc_lo
	s_delay_alu instid0(VALU_DEP_3) | instskip(NEXT) | instid1(VALU_DEP_1)
	v_cndmask_b32_e64 v117, v117, 0x70, vcc_lo
	v_dual_add_nc_u32 v40, 21, v117 :: v_dual_add_nc_u32 v47, 20, v117
	s_delay_alu instid0(VALU_DEP_1) | instskip(NEXT) | instid1(VALU_DEP_2)
	v_lshlrev_b64_e64 v[40:41], v40, -1
	v_lshlrev_b64_e64 v[62:63], v47, 1
	s_delay_alu instid0(VALU_DEP_2) | instskip(SKIP_1) | instid1(VALU_DEP_4)
	v_bfi_b32 v40, v40, 0, v118
	v_lshrrev_b64 v[118:119], v117, v[118:119]
	v_bfi_b32 v41, v41, 0, 0
	s_delay_alu instid0(VALU_DEP_1) | instskip(NEXT) | instid1(VALU_DEP_3)
	v_cmp_eq_u64_e64 s7, v[40:41], v[62:63]
	v_mov_b64_e32 v[40:41], v[118:119]
	s_and_saveexec_b32 s22, s7
; %bb.529:                              ;   in Loop: Header=BB2_489 Depth=2
	v_bfe_u32 v40, v118, 21, 1
	v_mov_b32_e32 v41, v55
	s_delay_alu instid0(VALU_DEP_1) | instskip(NEXT) | instid1(VALU_DEP_1)
	v_add_nc_u64_e32 v[40:41], v[118:119], v[40:41]
	v_add_nc_u64_e32 v[40:41], -1, v[40:41]
; %bb.530:                              ;   in Loop: Header=BB2_489 Depth=2
	s_or_b32 exec_lo, exec_lo, s22
	v_add_nc_u32_e32 v30, 0xffffff81, v30
	v_lshrrev_b32_e32 v119, 23, v118
	s_mov_b32 s7, exec_lo
	s_delay_alu instid0(VALU_DEP_2) | instskip(NEXT) | instid1(VALU_DEP_1)
	v_cndmask_b32_e64 v30, v30, 0xffffff82, vcc_lo
	v_add3_u32 v117, v117, v30, v119
	v_and_b32_e32 v30, 0x1fffff, v40
	s_delay_alu instid0(VALU_DEP_2) | instskip(NEXT) | instid1(VALU_DEP_2)
	v_dual_mov_b32 v119, v55 :: v_dual_add_nc_u32 v40, 14, v117
	v_add_nc_u32_e32 v118, v30, v118
                                        ; implicit-def: $vgpr30
	s_delay_alu instid0(VALU_DEP_2)
	v_cmpx_ne_u32_e32 0, v40
	s_xor_b32 s7, exec_lo, s7
; %bb.531:                              ;   in Loop: Header=BB2_489 Depth=2
	s_delay_alu instid0(VALU_DEP_2) | instskip(SKIP_2) | instid1(VALU_DEP_2)
	v_cmp_lt_u64_e32 vcc_lo, 0xffffff, v[118:119]
	v_add_nc_u32_e32 v30, 15, v117
	v_cndmask_b32_e64 v117, 0, 1, vcc_lo
	v_cndmask_b32_e32 v30, v40, v30, vcc_lo
	s_delay_alu instid0(VALU_DEP_2)
	v_lshrrev_b64 v[118:119], v117, v[118:119]
; %bb.532:                              ;   in Loop: Header=BB2_489 Depth=2
	s_and_not1_saveexec_b32 s7, s7
; %bb.533:                              ;   in Loop: Header=BB2_489 Depth=2
	s_delay_alu instid0(VALU_DEP_1)
	v_bfe_u32 v30, v118, 23, 1
; %bb.534:                              ;   in Loop: Header=BB2_489 Depth=2
	s_or_b32 exec_lo, exec_lo, s7
	s_delay_alu instid0(VALU_DEP_2) | instskip(NEXT) | instid1(VALU_DEP_2)
	v_lshrrev_b64 v[118:119], 21, v[118:119]
	v_cmp_gt_i32_e32 vcc_lo, 32, v30
	v_min_i32_e32 v117, 31, v30
	v_cmp_eq_u32_e64 s7, 0, v30
	s_delay_alu instid0(VALU_DEP_2) | instskip(SKIP_1) | instid1(VALU_DEP_2)
	v_dual_cndmask_b32 v119, 0, v119, vcc_lo :: v_dual_lshlrev_b32 v117, 2, v117
	v_cndmask_b32_e32 v118, 3, v118, vcc_lo
	v_and_b32_e32 v117, 0xfc, v117
	s_delay_alu instid0(VALU_DEP_2) | instskip(NEXT) | instid1(VALU_DEP_2)
	v_cmp_eq_u64_e32 vcc_lo, 0, v[118:119]
	v_and_or_b32 v30, v118, 3, v117
	s_and_b32 s7, s7, vcc_lo
	s_delay_alu instid0(VALU_DEP_1) | instid1(SALU_CYCLE_1)
	v_cndmask_b32_e64 v30, v30, 0, s7
	s_delay_alu instid0(VALU_DEP_1)
	v_or_b32_e32 v117, v30, v3
.LBB2_535:                              ;   in Loop: Header=BB2_489 Depth=2
	s_or_b32 exec_lo, exec_lo, s21
                                        ; implicit-def: $vgpr3
.LBB2_536:                              ;   in Loop: Header=BB2_489 Depth=2
	s_and_not1_saveexec_b32 s7, s20
; %bb.537:                              ;   in Loop: Header=BB2_489 Depth=2
	v_or_b32_e32 v117, 0x7b, v3
; %bb.538:                              ;   in Loop: Header=BB2_489 Depth=2
	s_or_b32 exec_lo, exec_lo, s7
                                        ; implicit-def: $vgpr30
                                        ; implicit-def: $vgpr118_vgpr119
                                        ; implicit-def: $vgpr3
.LBB2_539:                              ;   in Loop: Header=BB2_489 Depth=2
	s_and_not1_saveexec_b32 s7, s19
	s_cbranch_execz .LBB2_545
; %bb.540:                              ;   in Loop: Header=BB2_489 Depth=2
	s_mov_b32 s19, exec_lo
                                        ; implicit-def: $vgpr117
	v_cmpx_ne_u64_e32 0, v[118:119]
	s_xor_b32 s19, exec_lo, s19
; %bb.541:                              ;   in Loop: Header=BB2_489 Depth=2
	v_or_b32_e32 v117, 0x7f, v3
                                        ; implicit-def: $vgpr30
; %bb.542:                              ;   in Loop: Header=BB2_489 Depth=2
	s_and_not1_saveexec_b32 s19, s19
; %bb.543:                              ;   in Loop: Header=BB2_489 Depth=2
	v_cmp_lt_i32_e32 vcc_lo, -1, v30
	v_cndmask_b32_e32 v117, 0xfc, v58, vcc_lo
; %bb.544:                              ;   in Loop: Header=BB2_489 Depth=2
	s_or_b32 exec_lo, exec_lo, s19
.LBB2_545:                              ;   in Loop: Header=BB2_489 Depth=2
	s_delay_alu instid0(SALU_CYCLE_1) | instskip(SKIP_3) | instid1(VALU_DEP_2)
	s_or_b32 exec_lo, exec_lo, s7
	v_lshrrev_b16 v118, 8, v2
	v_dual_mov_b32 v3, 0 :: v_dual_mov_b32 v30, 0
	s_mov_b32 s7, exec_lo
	v_cmpx_ne_u16_e32 0, v118
	s_cbranch_execz .LBB2_555
; %bb.546:                              ;   in Loop: Header=BB2_489 Depth=2
	v_bfrev_b32_e32 v30, 1
	s_mov_b32 s19, exec_lo
	v_cmpx_ne_u16_e32 0x80, v118
	s_cbranch_execz .LBB2_554
; %bb.547:                              ;   in Loop: Header=BB2_489 Depth=2
	v_and_b32_e32 v40, 0xffff, v118
	s_delay_alu instid0(VALU_DEP_1) | instskip(SKIP_1) | instid1(VALU_DEP_2)
	v_and_b32_e32 v30, 0x7c, v40
	v_and_b32_e32 v119, 3, v40
	v_cmp_ne_u32_e32 vcc_lo, 0x7c, v30
                                        ; implicit-def: $vgpr30
	s_and_saveexec_b32 s20, vcc_lo
	s_delay_alu instid0(SALU_CYCLE_1)
	s_xor_b32 s20, exec_lo, s20
	s_cbranch_execz .LBB2_551
; %bb.548:                              ;   in Loop: Header=BB2_489 Depth=2
	v_bfe_u32 v30, v40, 2, 5
	s_mov_b32 s21, exec_lo
	s_delay_alu instid0(VALU_DEP_1)
	v_cmpx_eq_u32_e32 0, v30
	s_cbranch_execz .LBB2_550
; %bb.549:                              ;   in Loop: Header=BB2_489 Depth=2
	v_clz_i32_u32_e32 v30, v119
	s_delay_alu instid0(VALU_DEP_1) | instskip(SKIP_1) | instid1(VALU_DEP_2)
	v_min_u32_e32 v30, 32, v30
	v_mov_b32_e32 v119, v55
	v_subrev_nc_u32_e32 v40, 29, v30
	v_sub_nc_u32_e32 v30, 30, v30
	s_delay_alu instid0(VALU_DEP_2) | instskip(NEXT) | instid1(VALU_DEP_1)
	v_lshlrev_b64_e32 v[118:119], v40, v[118:119]
	v_and_b32_e32 v119, 3, v118
.LBB2_550:                              ;   in Loop: Header=BB2_489 Depth=2
	s_or_b32 exec_lo, exec_lo, s21
	v_lshlrev_b32_e32 v118, 16, v2
	s_delay_alu instid0(VALU_DEP_1) | instskip(NEXT) | instid1(VALU_DEP_1)
	v_and_b32_e32 v118, 0x80000000, v118
	v_lshl_add_u32 v30, v30, 23, v118
	s_delay_alu instid0(VALU_DEP_1) | instskip(NEXT) | instid1(VALU_DEP_1)
	v_lshl_or_b32 v30, v119, 21, v30
                                        ; implicit-def: $vgpr119
	v_add_nc_u32_e32 v30, 0x38000000, v30
.LBB2_551:                              ;   in Loop: Header=BB2_489 Depth=2
	s_and_not1_saveexec_b32 s20, s20
; %bb.552:                              ;   in Loop: Header=BB2_489 Depth=2
	v_cmp_lt_i16_e32 vcc_lo, -1, v2
	v_cndmask_b32_e32 v30, 0xff800000, v21, vcc_lo
	v_cmp_eq_u32_e32 vcc_lo, 0, v119
	s_delay_alu instid0(VALU_DEP_2)
	v_cndmask_b32_e32 v30, 0x7f800001, v30, vcc_lo
; %bb.553:                              ;   in Loop: Header=BB2_489 Depth=2
	s_or_b32 exec_lo, exec_lo, s20
.LBB2_554:                              ;   in Loop: Header=BB2_489 Depth=2
	s_delay_alu instid0(SALU_CYCLE_1)
	s_or_b32 exec_lo, exec_lo, s19
.LBB2_555:                              ;   in Loop: Header=BB2_489 Depth=2
	s_delay_alu instid0(SALU_CYCLE_1) | instskip(SKIP_2) | instid1(VALU_DEP_1)
	s_or_b32 exec_lo, exec_lo, s7
	v_lshrrev_b16 v118, 8, v54
	s_mov_b32 s7, exec_lo
	v_cmpx_ne_u16_e32 0, v118
	s_cbranch_execz .LBB2_565
; %bb.556:                              ;   in Loop: Header=BB2_489 Depth=2
	v_bfrev_b32_e32 v3, 1
	s_mov_b32 s19, exec_lo
	v_cmpx_ne_u16_e32 0x80, v118
	s_cbranch_execz .LBB2_564
; %bb.557:                              ;   in Loop: Header=BB2_489 Depth=2
	v_and_b32_e32 v40, 0xffff, v118
	s_delay_alu instid0(VALU_DEP_1) | instskip(SKIP_1) | instid1(VALU_DEP_2)
	v_and_b32_e32 v3, 0x7c, v40
	v_and_b32_e32 v119, 3, v40
	v_cmp_ne_u32_e32 vcc_lo, 0x7c, v3
                                        ; implicit-def: $vgpr3
	s_and_saveexec_b32 s20, vcc_lo
	s_delay_alu instid0(SALU_CYCLE_1)
	s_xor_b32 s20, exec_lo, s20
	s_cbranch_execz .LBB2_561
; %bb.558:                              ;   in Loop: Header=BB2_489 Depth=2
	v_bfe_u32 v3, v40, 2, 5
	s_mov_b32 s21, exec_lo
	s_delay_alu instid0(VALU_DEP_1)
	v_cmpx_eq_u32_e32 0, v3
	s_cbranch_execz .LBB2_560
; %bb.559:                              ;   in Loop: Header=BB2_489 Depth=2
	v_clz_i32_u32_e32 v3, v119
	s_delay_alu instid0(VALU_DEP_1) | instskip(SKIP_1) | instid1(VALU_DEP_2)
	v_min_u32_e32 v3, 32, v3
	v_mov_b32_e32 v119, v55
	v_subrev_nc_u32_e32 v40, 29, v3
	v_sub_nc_u32_e32 v3, 30, v3
	s_delay_alu instid0(VALU_DEP_2) | instskip(NEXT) | instid1(VALU_DEP_1)
	v_lshlrev_b64_e32 v[118:119], v40, v[118:119]
	v_and_b32_e32 v119, 3, v118
.LBB2_560:                              ;   in Loop: Header=BB2_489 Depth=2
	s_or_b32 exec_lo, exec_lo, s21
	v_lshlrev_b32_e32 v118, 16, v54
	s_delay_alu instid0(VALU_DEP_1) | instskip(NEXT) | instid1(VALU_DEP_1)
	v_and_b32_e32 v118, 0x80000000, v118
	v_lshl_add_u32 v3, v3, 23, v118
	s_delay_alu instid0(VALU_DEP_1) | instskip(NEXT) | instid1(VALU_DEP_1)
	v_lshl_or_b32 v3, v119, 21, v3
                                        ; implicit-def: $vgpr119
	v_add_nc_u32_e32 v3, 0x38000000, v3
.LBB2_561:                              ;   in Loop: Header=BB2_489 Depth=2
	s_and_not1_saveexec_b32 s20, s20
; %bb.562:                              ;   in Loop: Header=BB2_489 Depth=2
	v_cmp_lt_i16_e32 vcc_lo, -1, v54
	v_cndmask_b32_e32 v3, 0xff800000, v21, vcc_lo
	v_cmp_eq_u32_e32 vcc_lo, 0, v119
	s_delay_alu instid0(VALU_DEP_2)
	v_cndmask_b32_e32 v3, 0x7f800001, v3, vcc_lo
; %bb.563:                              ;   in Loop: Header=BB2_489 Depth=2
	s_or_b32 exec_lo, exec_lo, s20
.LBB2_564:                              ;   in Loop: Header=BB2_489 Depth=2
	s_delay_alu instid0(SALU_CYCLE_1)
	s_or_b32 exec_lo, exec_lo, s19
.LBB2_565:                              ;   in Loop: Header=BB2_489 Depth=2
	s_delay_alu instid0(SALU_CYCLE_1) | instskip(NEXT) | instid1(VALU_DEP_1)
	s_or_b32 exec_lo, exec_lo, s7
	v_dual_mul_f32 v30, v30, v3 :: v_dual_mov_b32 v41, v55
	v_mov_b32_e32 v119, v55
                                        ; implicit-def: $vgpr43
	s_mov_b32 s7, exec_lo
	s_delay_alu instid0(VALU_DEP_2) | instskip(SKIP_2) | instid1(VALU_DEP_3)
	v_and_b32_e32 v40, 0x7f800000, v30
	v_and_b32_e32 v118, 0x7fffff, v30
	v_lshrrev_b32_e32 v3, 24, v30
	v_cmpx_ne_u64_e32 0x7f800000, v[40:41]
	s_xor_b32 s19, exec_lo, s7
	s_cbranch_execz .LBB2_579
; %bb.566:                              ;   in Loop: Header=BB2_489 Depth=2
	v_and_b32_e32 v40, 0x7fffffff, v30
	v_mov_b32_e32 v41, v55
	v_and_b32_e32 v3, 0x80, v3
                                        ; implicit-def: $vgpr43
	s_mov_b32 s7, exec_lo
	s_delay_alu instid0(VALU_DEP_2)
	v_cmpx_gt_u64_e32 0x47600001, v[40:41]
	s_xor_b32 s20, exec_lo, s7
	s_cbranch_execz .LBB2_576
; %bb.567:                              ;   in Loop: Header=BB2_489 Depth=2
	v_mov_b32_e32 v43, 0
	s_mov_b32 s21, exec_lo
	v_cmpx_ne_u32_e32 0, v30
	s_cbranch_execz .LBB2_575
; %bb.568:                              ;   in Loop: Header=BB2_489 Depth=2
	v_bfe_u32 v30, v30, 23, 8
	v_or_b32_e32 v47, 0x800000, v118
	s_delay_alu instid0(VALU_DEP_2) | instskip(SKIP_1) | instid1(VALU_DEP_2)
	v_sub_nc_u32_e32 v40, 0x71, v30
	v_cmp_gt_u32_e32 vcc_lo, 0x72, v30
	v_cndmask_b32_e32 v40, 0, v40, vcc_lo
	v_cmp_eq_u32_e32 vcc_lo, 0, v30
	s_delay_alu instid0(VALU_DEP_2) | instskip(NEXT) | instid1(VALU_DEP_1)
	v_cndmask_b32_e64 v43, v40, 0x70, vcc_lo
	v_dual_cndmask_b32 v118, v47, v118, vcc_lo :: v_dual_add_nc_u32 v40, 21, v43
	v_add_nc_u32_e32 v61, 20, v43
	s_delay_alu instid0(VALU_DEP_2) | instskip(NEXT) | instid1(VALU_DEP_2)
	v_lshlrev_b64_e64 v[40:41], v40, -1
	v_lshlrev_b64_e64 v[62:63], v61, 1
	s_delay_alu instid0(VALU_DEP_2) | instskip(SKIP_1) | instid1(VALU_DEP_4)
	v_bfi_b32 v40, v40, 0, v118
	v_lshrrev_b64 v[118:119], v43, v[118:119]
	v_bfi_b32 v41, v41, 0, 0
	s_delay_alu instid0(VALU_DEP_1) | instskip(NEXT) | instid1(VALU_DEP_3)
	v_cmp_eq_u64_e64 s7, v[40:41], v[62:63]
	v_mov_b64_e32 v[40:41], v[118:119]
	s_and_saveexec_b32 s22, s7
; %bb.569:                              ;   in Loop: Header=BB2_489 Depth=2
	v_bfe_u32 v40, v118, 21, 1
	v_mov_b32_e32 v41, v55
	s_delay_alu instid0(VALU_DEP_1) | instskip(NEXT) | instid1(VALU_DEP_1)
	v_add_nc_u64_e32 v[40:41], v[118:119], v[40:41]
	v_add_nc_u64_e32 v[40:41], -1, v[40:41]
; %bb.570:                              ;   in Loop: Header=BB2_489 Depth=2
	s_or_b32 exec_lo, exec_lo, s22
	v_add_nc_u32_e32 v30, 0xffffff81, v30
	v_lshrrev_b32_e32 v119, 23, v118
	s_mov_b32 s7, exec_lo
	s_delay_alu instid0(VALU_DEP_2) | instskip(NEXT) | instid1(VALU_DEP_1)
	v_cndmask_b32_e64 v30, v30, 0xffffff82, vcc_lo
	v_add3_u32 v41, v43, v30, v119
	v_and_b32_e32 v30, 0x1fffff, v40
	s_delay_alu instid0(VALU_DEP_2) | instskip(NEXT) | instid1(VALU_DEP_2)
	v_dual_mov_b32 v119, v55 :: v_dual_add_nc_u32 v40, 14, v41
	v_add_nc_u32_e32 v118, v30, v118
                                        ; implicit-def: $vgpr30
	s_delay_alu instid0(VALU_DEP_2)
	v_cmpx_ne_u32_e32 0, v40
	s_xor_b32 s7, exec_lo, s7
; %bb.571:                              ;   in Loop: Header=BB2_489 Depth=2
	s_delay_alu instid0(VALU_DEP_2) | instskip(SKIP_1) | instid1(VALU_DEP_1)
	v_cmp_lt_u64_e32 vcc_lo, 0xffffff, v[118:119]
	v_add_nc_u32_e32 v30, 15, v41
	v_cndmask_b32_e32 v30, v40, v30, vcc_lo
	v_cndmask_b32_e64 v40, 0, 1, vcc_lo
	s_delay_alu instid0(VALU_DEP_1)
	v_lshrrev_b64 v[118:119], v40, v[118:119]
; %bb.572:                              ;   in Loop: Header=BB2_489 Depth=2
	s_and_not1_saveexec_b32 s7, s7
; %bb.573:                              ;   in Loop: Header=BB2_489 Depth=2
	s_delay_alu instid0(VALU_DEP_1)
	v_bfe_u32 v30, v118, 23, 1
; %bb.574:                              ;   in Loop: Header=BB2_489 Depth=2
	s_or_b32 exec_lo, exec_lo, s7
	s_delay_alu instid0(VALU_DEP_2) | instskip(NEXT) | instid1(VALU_DEP_2)
	v_lshrrev_b64 v[118:119], 21, v[118:119]
	v_cmp_gt_i32_e32 vcc_lo, 32, v30
	v_min_i32_e32 v40, 31, v30
	v_cmp_eq_u32_e64 s7, 0, v30
	s_delay_alu instid0(VALU_DEP_2) | instskip(SKIP_1) | instid1(VALU_DEP_2)
	v_dual_cndmask_b32 v119, 0, v119 :: v_dual_lshlrev_b32 v40, 2, v40
	v_cndmask_b32_e32 v118, 3, v118, vcc_lo
	v_and_b32_e32 v40, 0xfc, v40
	s_delay_alu instid0(VALU_DEP_2) | instskip(NEXT) | instid1(VALU_DEP_2)
	v_cmp_eq_u64_e32 vcc_lo, 0, v[118:119]
	v_and_or_b32 v30, v118, 3, v40
	s_and_b32 s7, s7, vcc_lo
	s_delay_alu instid0(VALU_DEP_1) | instid1(SALU_CYCLE_1)
	v_cndmask_b32_e64 v30, v30, 0, s7
	s_delay_alu instid0(VALU_DEP_1)
	v_or_b32_e32 v43, v30, v3
.LBB2_575:                              ;   in Loop: Header=BB2_489 Depth=2
	s_or_b32 exec_lo, exec_lo, s21
                                        ; implicit-def: $vgpr3
.LBB2_576:                              ;   in Loop: Header=BB2_489 Depth=2
	s_and_not1_saveexec_b32 s7, s20
; %bb.577:                              ;   in Loop: Header=BB2_489 Depth=2
	v_or_b32_e32 v43, 0x7b, v3
; %bb.578:                              ;   in Loop: Header=BB2_489 Depth=2
	s_or_b32 exec_lo, exec_lo, s7
                                        ; implicit-def: $vgpr30
                                        ; implicit-def: $vgpr118_vgpr119
                                        ; implicit-def: $vgpr3
.LBB2_579:                              ;   in Loop: Header=BB2_489 Depth=2
	s_and_not1_saveexec_b32 s7, s19
	s_cbranch_execz .LBB2_585
; %bb.580:                              ;   in Loop: Header=BB2_489 Depth=2
	s_mov_b32 s19, exec_lo
                                        ; implicit-def: $vgpr43
	v_cmpx_ne_u64_e32 0, v[118:119]
	s_xor_b32 s19, exec_lo, s19
; %bb.581:                              ;   in Loop: Header=BB2_489 Depth=2
	v_or_b32_e32 v43, 0x7f, v3
                                        ; implicit-def: $vgpr30
; %bb.582:                              ;   in Loop: Header=BB2_489 Depth=2
	s_and_not1_saveexec_b32 s19, s19
; %bb.583:                              ;   in Loop: Header=BB2_489 Depth=2
	v_cmp_lt_i32_e32 vcc_lo, -1, v30
	v_cndmask_b32_e32 v43, 0xfc, v58, vcc_lo
; %bb.584:                              ;   in Loop: Header=BB2_489 Depth=2
	s_or_b32 exec_lo, exec_lo, s19
.LBB2_585:                              ;   in Loop: Header=BB2_489 Depth=2
	s_delay_alu instid0(SALU_CYCLE_1) | instskip(SKIP_3) | instid1(VALU_DEP_2)
	s_or_b32 exec_lo, exec_lo, s7
	v_dual_lshrrev_b32 v30, 16, v2 :: v_dual_mov_b32 v118, 0
	v_mov_b32_e32 v3, 0
	s_mov_b32 s7, exec_lo
	v_and_b32_e32 v119, 0xff, v30
	s_delay_alu instid0(VALU_DEP_1)
	v_cmpx_ne_u16_e32 0, v119
	s_cbranch_execz .LBB2_595
; %bb.586:                              ;   in Loop: Header=BB2_489 Depth=2
	v_bfrev_b32_e32 v3, 1
	s_mov_b32 s19, exec_lo
	v_cmpx_ne_u16_e32 0x80, v119
	s_cbranch_execz .LBB2_594
; %bb.587:                              ;   in Loop: Header=BB2_489 Depth=2
	v_and_b32_e32 v3, 0x7c0000, v2
	v_bfe_u32 v119, v2, 16, 2
	s_delay_alu instid0(VALU_DEP_2) | instskip(SKIP_1) | instid1(SALU_CYCLE_1)
	v_cmp_ne_u32_e32 vcc_lo, 0x7c0000, v3
                                        ; implicit-def: $vgpr3
	s_and_saveexec_b32 s20, vcc_lo
	s_xor_b32 s20, exec_lo, s20
	s_cbranch_execz .LBB2_591
; %bb.588:                              ;   in Loop: Header=BB2_489 Depth=2
	v_bfe_u32 v3, v2, 18, 5
	s_mov_b32 s21, exec_lo
	s_delay_alu instid0(VALU_DEP_1)
	v_cmpx_eq_u32_e32 0, v3
; %bb.589:                              ;   in Loop: Header=BB2_489 Depth=2
	v_clz_i32_u32_e32 v3, v119
	s_delay_alu instid0(VALU_DEP_1) | instskip(NEXT) | instid1(VALU_DEP_1)
	v_min_u32_e32 v3, 32, v3
	v_subrev_nc_u32_e32 v119, 29, v3
	s_delay_alu instid0(VALU_DEP_1) | instskip(NEXT) | instid1(VALU_DEP_1)
	v_lshlrev_b64_e32 v[40:41], v119, v[30:31]
	v_dual_sub_nc_u32 v3, 30, v3 :: v_dual_bitop2_b32 v119, 3, v40 bitop3:0x40
; %bb.590:                              ;   in Loop: Header=BB2_489 Depth=2
	s_or_b32 exec_lo, exec_lo, s21
	v_lshlrev_b32_e32 v30, 24, v30
	s_delay_alu instid0(VALU_DEP_1) | instskip(NEXT) | instid1(VALU_DEP_1)
	v_and_b32_e32 v30, 0x80000000, v30
	v_lshl_add_u32 v3, v3, 23, v30
                                        ; implicit-def: $vgpr30
	s_delay_alu instid0(VALU_DEP_1) | instskip(NEXT) | instid1(VALU_DEP_1)
	v_lshl_or_b32 v3, v119, 21, v3
                                        ; implicit-def: $vgpr119
	v_add_nc_u32_e32 v3, 0x38000000, v3
.LBB2_591:                              ;   in Loop: Header=BB2_489 Depth=2
	s_and_not1_saveexec_b32 s20, s20
; %bb.592:                              ;   in Loop: Header=BB2_489 Depth=2
	v_bfe_i32 v3, v30, 0, 8
	s_delay_alu instid0(VALU_DEP_1) | instskip(SKIP_2) | instid1(VALU_DEP_2)
	v_cmp_lt_i16_e32 vcc_lo, -1, v3
	v_cndmask_b32_e32 v3, 0xff800000, v21, vcc_lo
	v_cmp_eq_u32_e32 vcc_lo, 0, v119
	v_cndmask_b32_e32 v3, 0x7f800001, v3, vcc_lo
; %bb.593:                              ;   in Loop: Header=BB2_489 Depth=2
	s_or_b32 exec_lo, exec_lo, s20
.LBB2_594:                              ;   in Loop: Header=BB2_489 Depth=2
	s_delay_alu instid0(SALU_CYCLE_1)
	s_or_b32 exec_lo, exec_lo, s19
.LBB2_595:                              ;   in Loop: Header=BB2_489 Depth=2
	s_delay_alu instid0(SALU_CYCLE_1) | instskip(SKIP_2) | instid1(VALU_DEP_1)
	s_or_b32 exec_lo, exec_lo, s7
	v_lshrrev_b32_e32 v30, 16, v54
	s_mov_b32 s7, exec_lo
	v_and_b32_e32 v119, 0xff, v30
	s_delay_alu instid0(VALU_DEP_1)
	v_cmpx_ne_u16_e32 0, v119
	s_cbranch_execz .LBB2_605
; %bb.596:                              ;   in Loop: Header=BB2_489 Depth=2
	v_bfrev_b32_e32 v118, 1
	s_mov_b32 s19, exec_lo
	v_cmpx_ne_u16_e32 0x80, v119
	s_cbranch_execz .LBB2_604
; %bb.597:                              ;   in Loop: Header=BB2_489 Depth=2
	v_and_b32_e32 v118, 0x7c0000, v54
	v_bfe_u32 v119, v54, 16, 2
	s_delay_alu instid0(VALU_DEP_2) | instskip(SKIP_1) | instid1(SALU_CYCLE_1)
	v_cmp_ne_u32_e32 vcc_lo, 0x7c0000, v118
                                        ; implicit-def: $vgpr118
	s_and_saveexec_b32 s20, vcc_lo
	s_xor_b32 s20, exec_lo, s20
	s_cbranch_execz .LBB2_601
; %bb.598:                              ;   in Loop: Header=BB2_489 Depth=2
	v_bfe_u32 v118, v54, 18, 5
	v_lshrrev_b32_e32 v30, 16, v54
	s_mov_b32 s21, exec_lo
	s_delay_alu instid0(VALU_DEP_2)
	v_cmpx_eq_u32_e32 0, v118
; %bb.599:                              ;   in Loop: Header=BB2_489 Depth=2
	v_clz_i32_u32_e32 v118, v119
	s_delay_alu instid0(VALU_DEP_1) | instskip(NEXT) | instid1(VALU_DEP_1)
	v_min_u32_e32 v118, 32, v118
	v_subrev_nc_u32_e32 v119, 29, v118
	s_delay_alu instid0(VALU_DEP_1) | instskip(NEXT) | instid1(VALU_DEP_1)
	v_lshlrev_b64_e32 v[40:41], v119, v[30:31]
	v_dual_sub_nc_u32 v118, 30, v118 :: v_dual_bitop2_b32 v119, 3, v40 bitop3:0x40
; %bb.600:                              ;   in Loop: Header=BB2_489 Depth=2
	s_or_b32 exec_lo, exec_lo, s21
	v_lshlrev_b32_e32 v30, 24, v30
	s_delay_alu instid0(VALU_DEP_1) | instskip(NEXT) | instid1(VALU_DEP_1)
	v_and_b32_e32 v30, 0x80000000, v30
	v_lshl_add_u32 v30, v118, 23, v30
	s_delay_alu instid0(VALU_DEP_1) | instskip(NEXT) | instid1(VALU_DEP_1)
	v_lshl_or_b32 v30, v119, 21, v30
                                        ; implicit-def: $vgpr119
	v_add_nc_u32_e32 v118, 0x38000000, v30
                                        ; implicit-def: $vgpr30
.LBB2_601:                              ;   in Loop: Header=BB2_489 Depth=2
	s_and_not1_saveexec_b32 s20, s20
; %bb.602:                              ;   in Loop: Header=BB2_489 Depth=2
	v_bfe_i32 v30, v30, 0, 8
	s_delay_alu instid0(VALU_DEP_1) | instskip(SKIP_2) | instid1(VALU_DEP_2)
	v_cmp_lt_i16_e32 vcc_lo, -1, v30
	v_cndmask_b32_e32 v30, 0xff800000, v21, vcc_lo
	v_cmp_eq_u32_e32 vcc_lo, 0, v119
	v_cndmask_b32_e32 v118, 0x7f800001, v30, vcc_lo
; %bb.603:                              ;   in Loop: Header=BB2_489 Depth=2
	s_or_b32 exec_lo, exec_lo, s20
.LBB2_604:                              ;   in Loop: Header=BB2_489 Depth=2
	s_delay_alu instid0(SALU_CYCLE_1)
	s_or_b32 exec_lo, exec_lo, s19
.LBB2_605:                              ;   in Loop: Header=BB2_489 Depth=2
	s_delay_alu instid0(SALU_CYCLE_1) | instskip(NEXT) | instid1(VALU_DEP_1)
	s_or_b32 exec_lo, exec_lo, s7
	v_mul_f32_e32 v30, v3, v118
	v_dual_mov_b32 v41, v55 :: v_dual_mov_b32 v119, v55
	s_delay_alu instid0(VALU_DEP_2) | instskip(SKIP_2) | instid1(VALU_DEP_3)
	v_and_b32_e32 v40, 0x7f800000, v30
	v_and_b32_e32 v118, 0x7fffff, v30
	v_lshrrev_b32_e32 v3, 24, v30
	v_cmp_ne_u64_e32 vcc_lo, 0x7f800000, v[40:41]
                                        ; implicit-def: $vgpr40
	s_and_saveexec_b32 s7, vcc_lo
	s_delay_alu instid0(SALU_CYCLE_1)
	s_xor_b32 s19, exec_lo, s7
	s_cbranch_execz .LBB2_619
; %bb.606:                              ;   in Loop: Header=BB2_489 Depth=2
	v_and_b32_e32 v40, 0x7fffffff, v30
	v_mov_b32_e32 v41, v55
	v_and_b32_e32 v3, 0x80, v3
	s_delay_alu instid0(VALU_DEP_2) | instskip(SKIP_1) | instid1(SALU_CYCLE_1)
	v_cmp_gt_u64_e32 vcc_lo, 0x47600001, v[40:41]
                                        ; implicit-def: $vgpr40
	s_and_saveexec_b32 s7, vcc_lo
	s_xor_b32 s20, exec_lo, s7
	s_cbranch_execz .LBB2_616
; %bb.607:                              ;   in Loop: Header=BB2_489 Depth=2
	v_mov_b32_e32 v40, 0
	s_mov_b32 s21, exec_lo
	v_cmpx_ne_u32_e32 0, v30
	s_cbranch_execz .LBB2_615
; %bb.608:                              ;   in Loop: Header=BB2_489 Depth=2
	v_bfe_u32 v30, v30, 23, 8
	v_or_b32_e32 v41, 0x800000, v118
	s_delay_alu instid0(VALU_DEP_2) | instskip(SKIP_2) | instid1(VALU_DEP_2)
	v_cmp_gt_u32_e64 s7, 0x72, v30
	v_sub_nc_u32_e32 v40, 0x71, v30
	v_cmp_eq_u32_e32 vcc_lo, 0, v30
	v_dual_cndmask_b32 v40, 0, v40, s7 :: v_dual_cndmask_b32 v118, v41, v118, vcc_lo
	s_delay_alu instid0(VALU_DEP_1) | instskip(NEXT) | instid1(VALU_DEP_1)
	v_cndmask_b32_e64 v47, v40, 0x70, vcc_lo
	v_dual_add_nc_u32 v40, 21, v47 :: v_dual_add_nc_u32 v61, 20, v47
	s_delay_alu instid0(VALU_DEP_1) | instskip(NEXT) | instid1(VALU_DEP_2)
	v_lshlrev_b64_e64 v[40:41], v40, -1
	v_lshlrev_b64_e64 v[62:63], v61, 1
	s_delay_alu instid0(VALU_DEP_2) | instskip(SKIP_1) | instid1(VALU_DEP_4)
	v_bfi_b32 v40, v40, 0, v118
	v_lshrrev_b64 v[118:119], v47, v[118:119]
	v_bfi_b32 v41, v41, 0, 0
	s_delay_alu instid0(VALU_DEP_1) | instskip(NEXT) | instid1(VALU_DEP_3)
	v_cmp_eq_u64_e64 s7, v[40:41], v[62:63]
	v_mov_b64_e32 v[40:41], v[118:119]
	s_and_saveexec_b32 s22, s7
; %bb.609:                              ;   in Loop: Header=BB2_489 Depth=2
	v_bfe_u32 v40, v118, 21, 1
	v_mov_b32_e32 v41, v55
	s_delay_alu instid0(VALU_DEP_1) | instskip(NEXT) | instid1(VALU_DEP_1)
	v_add_nc_u64_e32 v[40:41], v[118:119], v[40:41]
	v_add_nc_u64_e32 v[40:41], -1, v[40:41]
; %bb.610:                              ;   in Loop: Header=BB2_489 Depth=2
	s_or_b32 exec_lo, exec_lo, s22
	v_add_nc_u32_e32 v30, 0xffffff81, v30
	v_lshrrev_b32_e32 v119, 23, v118
	s_mov_b32 s7, exec_lo
	s_delay_alu instid0(VALU_DEP_2) | instskip(NEXT) | instid1(VALU_DEP_1)
	v_cndmask_b32_e64 v30, v30, 0xffffff82, vcc_lo
	v_add3_u32 v41, v47, v30, v119
	v_and_b32_e32 v30, 0x1fffff, v40
	s_delay_alu instid0(VALU_DEP_2) | instskip(NEXT) | instid1(VALU_DEP_2)
	v_dual_mov_b32 v119, v55 :: v_dual_add_nc_u32 v40, 14, v41
	v_add_nc_u32_e32 v118, v30, v118
                                        ; implicit-def: $vgpr30
	s_delay_alu instid0(VALU_DEP_2)
	v_cmpx_ne_u32_e32 0, v40
	s_xor_b32 s7, exec_lo, s7
; %bb.611:                              ;   in Loop: Header=BB2_489 Depth=2
	s_delay_alu instid0(VALU_DEP_2) | instskip(SKIP_1) | instid1(VALU_DEP_1)
	v_cmp_lt_u64_e32 vcc_lo, 0xffffff, v[118:119]
	v_add_nc_u32_e32 v30, 15, v41
	v_cndmask_b32_e32 v30, v40, v30, vcc_lo
	v_cndmask_b32_e64 v40, 0, 1, vcc_lo
	s_delay_alu instid0(VALU_DEP_1)
	v_lshrrev_b64 v[118:119], v40, v[118:119]
; %bb.612:                              ;   in Loop: Header=BB2_489 Depth=2
	s_and_not1_saveexec_b32 s7, s7
; %bb.613:                              ;   in Loop: Header=BB2_489 Depth=2
	s_delay_alu instid0(VALU_DEP_1)
	v_bfe_u32 v30, v118, 23, 1
; %bb.614:                              ;   in Loop: Header=BB2_489 Depth=2
	s_or_b32 exec_lo, exec_lo, s7
	s_delay_alu instid0(VALU_DEP_2) | instskip(NEXT) | instid1(VALU_DEP_2)
	v_lshrrev_b64 v[118:119], 21, v[118:119]
	v_cmp_gt_i32_e32 vcc_lo, 32, v30
	v_min_i32_e32 v40, 31, v30
	v_cmp_eq_u32_e64 s7, 0, v30
	s_delay_alu instid0(VALU_DEP_2) | instskip(SKIP_1) | instid1(VALU_DEP_2)
	v_dual_cndmask_b32 v119, 0, v119 :: v_dual_lshlrev_b32 v40, 2, v40
	v_cndmask_b32_e32 v118, 3, v118, vcc_lo
	v_and_b32_e32 v40, 0xfc, v40
	s_delay_alu instid0(VALU_DEP_2) | instskip(NEXT) | instid1(VALU_DEP_2)
	v_cmp_eq_u64_e32 vcc_lo, 0, v[118:119]
	v_and_or_b32 v30, v118, 3, v40
	s_and_b32 s7, s7, vcc_lo
	s_delay_alu instid0(VALU_DEP_1) | instid1(SALU_CYCLE_1)
	v_cndmask_b32_e64 v30, v30, 0, s7
	s_delay_alu instid0(VALU_DEP_1)
	v_or_b32_e32 v40, v30, v3
.LBB2_615:                              ;   in Loop: Header=BB2_489 Depth=2
	s_or_b32 exec_lo, exec_lo, s21
                                        ; implicit-def: $vgpr3
.LBB2_616:                              ;   in Loop: Header=BB2_489 Depth=2
	s_and_not1_saveexec_b32 s7, s20
; %bb.617:                              ;   in Loop: Header=BB2_489 Depth=2
	v_or_b32_e32 v40, 0x7b, v3
; %bb.618:                              ;   in Loop: Header=BB2_489 Depth=2
	s_or_b32 exec_lo, exec_lo, s7
                                        ; implicit-def: $vgpr30
                                        ; implicit-def: $vgpr118_vgpr119
                                        ; implicit-def: $vgpr3
.LBB2_619:                              ;   in Loop: Header=BB2_489 Depth=2
	s_and_not1_saveexec_b32 s7, s19
	s_cbranch_execz .LBB2_625
; %bb.620:                              ;   in Loop: Header=BB2_489 Depth=2
	s_mov_b32 s19, exec_lo
                                        ; implicit-def: $vgpr40
	v_cmpx_ne_u64_e32 0, v[118:119]
	s_xor_b32 s19, exec_lo, s19
; %bb.621:                              ;   in Loop: Header=BB2_489 Depth=2
	v_or_b32_e32 v40, 0x7f, v3
                                        ; implicit-def: $vgpr30
; %bb.622:                              ;   in Loop: Header=BB2_489 Depth=2
	s_and_not1_saveexec_b32 s19, s19
; %bb.623:                              ;   in Loop: Header=BB2_489 Depth=2
	v_cmp_lt_i32_e32 vcc_lo, -1, v30
	v_cndmask_b32_e32 v40, 0xfc, v58, vcc_lo
; %bb.624:                              ;   in Loop: Header=BB2_489 Depth=2
	s_or_b32 exec_lo, exec_lo, s19
.LBB2_625:                              ;   in Loop: Header=BB2_489 Depth=2
	s_delay_alu instid0(SALU_CYCLE_1)
	s_or_b32 exec_lo, exec_lo, s7
	v_dual_mov_b32 v3, 0 :: v_dual_mov_b32 v118, 0
	s_mov_b32 s7, exec_lo
	v_cmpx_lt_u32_e32 0xffffff, v2
	s_cbranch_execz .LBB2_635
; %bb.626:                              ;   in Loop: Header=BB2_489 Depth=2
	v_lshrrev_b32_e32 v30, 24, v2
	v_bfrev_b32_e32 v118, 1
	s_mov_b32 s19, exec_lo
	s_delay_alu instid0(VALU_DEP_2)
	v_cmpx_ne_u32_e32 0x80, v30
	s_cbranch_execz .LBB2_634
; %bb.627:                              ;   in Loop: Header=BB2_489 Depth=2
	v_and_b32_e32 v118, 0x7c000000, v2
	v_bfe_u32 v119, v2, 24, 2
	s_delay_alu instid0(VALU_DEP_2) | instskip(SKIP_1) | instid1(SALU_CYCLE_1)
	v_cmp_ne_u32_e32 vcc_lo, 0x7c000000, v118
                                        ; implicit-def: $vgpr118
	s_and_saveexec_b32 s20, vcc_lo
	s_xor_b32 s20, exec_lo, s20
	s_cbranch_execz .LBB2_631
; %bb.628:                              ;   in Loop: Header=BB2_489 Depth=2
	v_bfe_u32 v118, v2, 26, 5
	s_mov_b32 s21, exec_lo
	s_delay_alu instid0(VALU_DEP_1)
	v_cmpx_eq_u32_e32 0, v118
; %bb.629:                              ;   in Loop: Header=BB2_489 Depth=2
	v_clz_i32_u32_e32 v118, v119
	s_delay_alu instid0(VALU_DEP_1) | instskip(NEXT) | instid1(VALU_DEP_1)
	v_min_u32_e32 v118, 32, v118
	v_subrev_nc_u32_e32 v119, 29, v118
	v_sub_nc_u32_e32 v118, 30, v118
	s_delay_alu instid0(VALU_DEP_2) | instskip(NEXT) | instid1(VALU_DEP_1)
	v_lshlrev_b64_e32 v[62:63], v119, v[30:31]
	v_and_b32_e32 v119, 3, v62
; %bb.630:                              ;   in Loop: Header=BB2_489 Depth=2
	s_or_b32 exec_lo, exec_lo, s21
	v_and_b32_e32 v2, 0x80000000, v2
	s_delay_alu instid0(VALU_DEP_1) | instskip(NEXT) | instid1(VALU_DEP_1)
	v_lshl_add_u32 v2, v118, 23, v2
	v_lshl_or_b32 v2, v119, 21, v2
                                        ; implicit-def: $vgpr119
	s_delay_alu instid0(VALU_DEP_1)
	v_add_nc_u32_e32 v118, 0x38000000, v2
.LBB2_631:                              ;   in Loop: Header=BB2_489 Depth=2
	s_and_not1_saveexec_b32 s20, s20
; %bb.632:                              ;   in Loop: Header=BB2_489 Depth=2
	v_cmp_lt_i32_e32 vcc_lo, -1, v2
	v_cndmask_b32_e32 v2, 0xff800000, v21, vcc_lo
	v_cmp_eq_u32_e32 vcc_lo, 0, v119
	s_delay_alu instid0(VALU_DEP_2)
	v_cndmask_b32_e32 v118, 0x7f800001, v2, vcc_lo
; %bb.633:                              ;   in Loop: Header=BB2_489 Depth=2
	s_or_b32 exec_lo, exec_lo, s20
.LBB2_634:                              ;   in Loop: Header=BB2_489 Depth=2
	s_delay_alu instid0(SALU_CYCLE_1)
	s_or_b32 exec_lo, exec_lo, s19
.LBB2_635:                              ;   in Loop: Header=BB2_489 Depth=2
	s_delay_alu instid0(SALU_CYCLE_1) | instskip(NEXT) | instid1(SALU_CYCLE_1)
	s_or_b32 exec_lo, exec_lo, s7
	s_mov_b32 s7, exec_lo
	v_cmpx_lt_u32_e32 0xffffff, v54
	s_cbranch_execz .LBB2_645
; %bb.636:                              ;   in Loop: Header=BB2_489 Depth=2
	v_lshrrev_b32_e32 v2, 24, v54
	v_bfrev_b32_e32 v3, 1
	s_mov_b32 s19, exec_lo
	s_delay_alu instid0(VALU_DEP_2)
	v_cmpx_ne_u32_e32 0x80, v2
	s_cbranch_execz .LBB2_644
; %bb.637:                              ;   in Loop: Header=BB2_489 Depth=2
	v_and_b32_e32 v3, 0x7c000000, v54
	v_bfe_u32 v30, v54, 24, 2
	s_delay_alu instid0(VALU_DEP_2) | instskip(SKIP_1) | instid1(SALU_CYCLE_1)
	v_cmp_ne_u32_e32 vcc_lo, 0x7c000000, v3
                                        ; implicit-def: $vgpr3
	s_and_saveexec_b32 s20, vcc_lo
	s_xor_b32 s20, exec_lo, s20
	s_cbranch_execz .LBB2_641
; %bb.638:                              ;   in Loop: Header=BB2_489 Depth=2
	v_bfe_u32 v3, v54, 26, 5
	s_mov_b32 s21, exec_lo
	s_delay_alu instid0(VALU_DEP_1)
	v_cmpx_eq_u32_e32 0, v3
; %bb.639:                              ;   in Loop: Header=BB2_489 Depth=2
	v_clz_i32_u32_e32 v3, v30
	s_delay_alu instid0(VALU_DEP_1) | instskip(NEXT) | instid1(VALU_DEP_1)
	v_min_u32_e32 v30, 32, v3
	v_subrev_nc_u32_e32 v3, 29, v30
	s_delay_alu instid0(VALU_DEP_1) | instskip(SKIP_1) | instid1(VALU_DEP_2)
	v_lshlrev_b64_e32 v[2:3], v3, v[2:3]
	v_sub_nc_u32_e32 v3, 30, v30
	v_and_b32_e32 v30, 3, v2
; %bb.640:                              ;   in Loop: Header=BB2_489 Depth=2
	s_or_b32 exec_lo, exec_lo, s21
	v_and_b32_e32 v2, 0x80000000, v54
	s_delay_alu instid0(VALU_DEP_1) | instskip(NEXT) | instid1(VALU_DEP_1)
	v_lshl_add_u32 v2, v3, 23, v2
	v_lshl_or_b32 v2, v30, 21, v2
                                        ; implicit-def: $vgpr30
	s_delay_alu instid0(VALU_DEP_1)
	v_add_nc_u32_e32 v3, 0x38000000, v2
.LBB2_641:                              ;   in Loop: Header=BB2_489 Depth=2
	s_and_not1_saveexec_b32 s20, s20
; %bb.642:                              ;   in Loop: Header=BB2_489 Depth=2
	v_cmp_lt_i32_e32 vcc_lo, -1, v54
	v_cndmask_b32_e32 v2, 0xff800000, v21, vcc_lo
	v_cmp_eq_u32_e32 vcc_lo, 0, v30
	s_delay_alu instid0(VALU_DEP_2)
	v_cndmask_b32_e32 v3, 0x7f800001, v2, vcc_lo
; %bb.643:                              ;   in Loop: Header=BB2_489 Depth=2
	s_or_b32 exec_lo, exec_lo, s20
.LBB2_644:                              ;   in Loop: Header=BB2_489 Depth=2
	s_delay_alu instid0(SALU_CYCLE_1)
	s_or_b32 exec_lo, exec_lo, s19
.LBB2_645:                              ;   in Loop: Header=BB2_489 Depth=2
	s_delay_alu instid0(SALU_CYCLE_1) | instskip(NEXT) | instid1(VALU_DEP_1)
	s_or_b32 exec_lo, exec_lo, s7
	v_dual_mul_f32 v2, v118, v3 :: v_dual_mov_b32 v119, v55
                                        ; implicit-def: $vgpr41
	s_mov_b32 s7, exec_lo
	s_delay_alu instid0(VALU_DEP_1) | instskip(SKIP_2) | instid1(VALU_DEP_3)
	v_and_b32_e32 v118, 0x7f800000, v2
	v_and_b32_e32 v54, 0x7fffff, v2
	v_lshrrev_b32_e32 v3, 24, v2
	v_cmpx_ne_u64_e32 0x7f800000, v[118:119]
	s_xor_b32 s19, exec_lo, s7
	s_cbranch_execz .LBB2_659
; %bb.646:                              ;   in Loop: Header=BB2_489 Depth=2
	v_and_b32_e32 v118, 0x7fffffff, v2
	v_mov_b32_e32 v119, v55
	v_and_b32_e32 v30, 0x80, v3
                                        ; implicit-def: $vgpr41
	s_mov_b32 s7, exec_lo
	s_delay_alu instid0(VALU_DEP_2)
	v_cmpx_gt_u64_e32 0x47600001, v[118:119]
	s_xor_b32 s20, exec_lo, s7
	s_cbranch_execz .LBB2_656
; %bb.647:                              ;   in Loop: Header=BB2_489 Depth=2
	v_mov_b32_e32 v41, 0
	s_mov_b32 s21, exec_lo
	v_cmpx_ne_u32_e32 0, v2
	s_cbranch_execz .LBB2_655
; %bb.648:                              ;   in Loop: Header=BB2_489 Depth=2
	v_bfe_u32 v41, v2, 23, 8
	v_or_b32_e32 v118, 0x800000, v54
	s_delay_alu instid0(VALU_DEP_2) | instskip(SKIP_1) | instid1(VALU_DEP_2)
	v_sub_nc_u32_e32 v2, 0x71, v41
	v_cmp_gt_u32_e32 vcc_lo, 0x72, v41
	v_cndmask_b32_e32 v2, 0, v2, vcc_lo
	v_cmp_eq_u32_e32 vcc_lo, 0, v41
	s_delay_alu instid0(VALU_DEP_2) | instskip(NEXT) | instid1(VALU_DEP_1)
	v_cndmask_b32_e64 v47, v2, 0x70, vcc_lo
	v_dual_cndmask_b32 v54, v118, v54, vcc_lo :: v_dual_add_nc_u32 v2, 21, v47
	v_add_nc_u32_e32 v119, 20, v47
	s_delay_alu instid0(VALU_DEP_2) | instskip(NEXT) | instid1(VALU_DEP_2)
	v_lshlrev_b64_e64 v[2:3], v2, -1
	v_lshlrev_b64_e64 v[118:119], v119, 1
	s_delay_alu instid0(VALU_DEP_2) | instskip(NEXT) | instid1(VALU_DEP_3)
	v_bfi_b32 v63, v3, 0, 0
	v_bfi_b32 v62, v2, 0, v54
	v_lshrrev_b64 v[2:3], v47, v[54:55]
	s_delay_alu instid0(VALU_DEP_2) | instskip(NEXT) | instid1(VALU_DEP_2)
	v_cmp_eq_u64_e64 s7, v[62:63], v[118:119]
	v_mov_b64_e32 v[118:119], v[2:3]
	s_and_saveexec_b32 s22, s7
; %bb.649:                              ;   in Loop: Header=BB2_489 Depth=2
	v_bfe_u32 v54, v2, 21, 1
	s_delay_alu instid0(VALU_DEP_1) | instskip(NEXT) | instid1(VALU_DEP_1)
	v_add_nc_u64_e32 v[118:119], v[2:3], v[54:55]
	v_add_nc_u64_e32 v[118:119], -1, v[118:119]
; %bb.650:                              ;   in Loop: Header=BB2_489 Depth=2
	s_or_b32 exec_lo, exec_lo, s22
	v_add_nc_u32_e32 v3, 0xffffff81, v41
	v_lshrrev_b32_e32 v54, 23, v2
	s_mov_b32 s7, exec_lo
	s_delay_alu instid0(VALU_DEP_2) | instskip(NEXT) | instid1(VALU_DEP_1)
	v_cndmask_b32_e64 v3, v3, 0xffffff82, vcc_lo
	v_add3_u32 v119, v47, v3, v54
	v_and_b32_e32 v3, 0x1fffff, v118
                                        ; implicit-def: $vgpr118
	s_delay_alu instid0(VALU_DEP_1) | instskip(NEXT) | instid1(VALU_DEP_1)
	v_dual_add_nc_u32 v41, 14, v119 :: v_dual_add_nc_u32 v54, v3, v2
                                        ; implicit-def: $vgpr2_vgpr3
	v_cmpx_ne_u32_e32 0, v41
	s_xor_b32 s7, exec_lo, s7
; %bb.651:                              ;   in Loop: Header=BB2_489 Depth=2
	s_delay_alu instid0(VALU_DEP_2) | instskip(SKIP_1) | instid1(VALU_DEP_1)
	v_cmp_lt_u64_e32 vcc_lo, 0xffffff, v[54:55]
	v_add_nc_u32_e32 v2, 15, v119
	v_cndmask_b32_e32 v118, v41, v2, vcc_lo
	v_cndmask_b32_e64 v2, 0, 1, vcc_lo
	s_delay_alu instid0(VALU_DEP_1)
	v_lshrrev_b64 v[2:3], v2, v[54:55]
; %bb.652:                              ;   in Loop: Header=BB2_489 Depth=2
	s_and_not1_saveexec_b32 s7, s7
; %bb.653:                              ;   in Loop: Header=BB2_489 Depth=2
	v_mov_b64_e32 v[2:3], v[54:55]
	v_bfe_u32 v118, v54, 23, 1
; %bb.654:                              ;   in Loop: Header=BB2_489 Depth=2
	s_or_b32 exec_lo, exec_lo, s7
	s_delay_alu instid0(VALU_DEP_2) | instskip(NEXT) | instid1(VALU_DEP_2)
	v_lshrrev_b64 v[2:3], 21, v[2:3]
	v_cmp_gt_i32_e32 vcc_lo, 32, v118
	v_min_i32_e32 v54, 31, v118
	v_cmp_eq_u32_e64 s7, 0, v118
	s_delay_alu instid0(VALU_DEP_2) | instskip(SKIP_1) | instid1(VALU_DEP_2)
	v_dual_cndmask_b32 v3, 0, v3 :: v_dual_lshlrev_b32 v54, 2, v54
	v_cndmask_b32_e32 v2, 3, v2, vcc_lo
	v_and_b32_e32 v54, 0xfc, v54
	s_delay_alu instid0(VALU_DEP_2) | instskip(NEXT) | instid1(VALU_DEP_2)
	v_cmp_eq_u64_e32 vcc_lo, 0, v[2:3]
	v_and_or_b32 v2, v2, 3, v54
	s_and_b32 s7, s7, vcc_lo
	s_delay_alu instid0(VALU_DEP_1) | instid1(SALU_CYCLE_1)
	v_cndmask_b32_e64 v2, v2, 0, s7
	s_delay_alu instid0(VALU_DEP_1)
	v_or_b32_e32 v41, v2, v30
.LBB2_655:                              ;   in Loop: Header=BB2_489 Depth=2
	s_or_b32 exec_lo, exec_lo, s21
                                        ; implicit-def: $vgpr30
.LBB2_656:                              ;   in Loop: Header=BB2_489 Depth=2
	s_and_not1_saveexec_b32 s7, s20
; %bb.657:                              ;   in Loop: Header=BB2_489 Depth=2
	v_or_b32_e32 v41, 0x7b, v30
; %bb.658:                              ;   in Loop: Header=BB2_489 Depth=2
	s_or_b32 exec_lo, exec_lo, s7
                                        ; implicit-def: $vgpr2
                                        ; implicit-def: $vgpr3
.LBB2_659:                              ;   in Loop: Header=BB2_489 Depth=2
	s_and_not1_saveexec_b32 s7, s19
	s_cbranch_execz .LBB2_665
; %bb.660:                              ;   in Loop: Header=BB2_489 Depth=2
	s_mov_b32 s19, exec_lo
                                        ; implicit-def: $vgpr41
	v_cmpx_ne_u64_e32 0, v[54:55]
	s_xor_b32 s19, exec_lo, s19
; %bb.661:                              ;   in Loop: Header=BB2_489 Depth=2
	v_or_b32_e32 v41, 0x7f, v3
                                        ; implicit-def: $vgpr2
; %bb.662:                              ;   in Loop: Header=BB2_489 Depth=2
	s_and_not1_saveexec_b32 s19, s19
; %bb.663:                              ;   in Loop: Header=BB2_489 Depth=2
	v_cmp_lt_i32_e32 vcc_lo, -1, v2
	v_cndmask_b32_e32 v41, 0xfc, v58, vcc_lo
; %bb.664:                              ;   in Loop: Header=BB2_489 Depth=2
	s_or_b32 exec_lo, exec_lo, s19
.LBB2_665:                              ;   in Loop: Header=BB2_489 Depth=2
	s_delay_alu instid0(SALU_CYCLE_1) | instskip(SKIP_2) | instid1(VALU_DEP_2)
	s_or_b32 exec_lo, exec_lo, s7
	v_and_b32_e32 v3, 0xff, v4
	v_mov_b32_e32 v2, 0
	v_cmp_ne_u16_e32 vcc_lo, 0, v3
	v_mov_b32_e32 v3, 0
	s_and_saveexec_b32 s7, vcc_lo
	s_cbranch_execz .LBB2_675
; %bb.666:                              ;   in Loop: Header=BB2_489 Depth=2
	v_bfe_i32 v54, v4, 0, 8
	v_bfrev_b32_e32 v3, 1
	s_mov_b32 s19, exec_lo
	s_delay_alu instid0(VALU_DEP_2)
	v_cmpx_ne_u16_e32 0xff80, v54
	s_cbranch_execz .LBB2_674
; %bb.667:                              ;   in Loop: Header=BB2_489 Depth=2
	v_and_b32_e32 v3, 0x7c, v4
	v_and_b32_e32 v30, 3, v4
	s_delay_alu instid0(VALU_DEP_2) | instskip(SKIP_1) | instid1(SALU_CYCLE_1)
	v_cmp_ne_u32_e32 vcc_lo, 0x7c, v3
                                        ; implicit-def: $vgpr3
	s_and_saveexec_b32 s20, vcc_lo
	s_xor_b32 s20, exec_lo, s20
	s_cbranch_execz .LBB2_671
; %bb.668:                              ;   in Loop: Header=BB2_489 Depth=2
	v_bfe_u32 v3, v4, 2, 5
	s_mov_b32 s21, exec_lo
	s_delay_alu instid0(VALU_DEP_1)
	v_cmpx_eq_u32_e32 0, v3
; %bb.669:                              ;   in Loop: Header=BB2_489 Depth=2
	v_clz_i32_u32_e32 v3, v30
	s_delay_alu instid0(VALU_DEP_1) | instskip(NEXT) | instid1(VALU_DEP_1)
	v_min_u32_e32 v3, 32, v3
	v_subrev_nc_u32_e32 v30, 29, v3
	s_delay_alu instid0(VALU_DEP_1) | instskip(NEXT) | instid1(VALU_DEP_1)
	v_lshlrev_b64_e32 v[118:119], v30, v[4:5]
	v_dual_sub_nc_u32 v3, 30, v3 :: v_dual_bitop2_b32 v30, 3, v118 bitop3:0x40
; %bb.670:                              ;   in Loop: Header=BB2_489 Depth=2
	s_or_b32 exec_lo, exec_lo, s21
	v_lshlrev_b32_e32 v5, 24, v4
                                        ; implicit-def: $vgpr54
	s_delay_alu instid0(VALU_DEP_1) | instskip(NEXT) | instid1(VALU_DEP_1)
	v_and_b32_e32 v5, 0x80000000, v5
	v_lshl_add_u32 v3, v3, 23, v5
	s_delay_alu instid0(VALU_DEP_1) | instskip(NEXT) | instid1(VALU_DEP_1)
	v_lshl_or_b32 v3, v30, 21, v3
                                        ; implicit-def: $vgpr30
	v_add_nc_u32_e32 v3, 0x38000000, v3
.LBB2_671:                              ;   in Loop: Header=BB2_489 Depth=2
	s_and_not1_saveexec_b32 s20, s20
; %bb.672:                              ;   in Loop: Header=BB2_489 Depth=2
	v_cmp_lt_i16_e32 vcc_lo, -1, v54
	v_cndmask_b32_e32 v3, 0xff800000, v21, vcc_lo
	v_cmp_eq_u32_e32 vcc_lo, 0, v30
	s_delay_alu instid0(VALU_DEP_2)
	v_cndmask_b32_e32 v3, 0x7f800001, v3, vcc_lo
; %bb.673:                              ;   in Loop: Header=BB2_489 Depth=2
	s_or_b32 exec_lo, exec_lo, s20
.LBB2_674:                              ;   in Loop: Header=BB2_489 Depth=2
	s_delay_alu instid0(SALU_CYCLE_1)
	s_or_b32 exec_lo, exec_lo, s19
.LBB2_675:                              ;   in Loop: Header=BB2_489 Depth=2
	s_delay_alu instid0(SALU_CYCLE_1) | instskip(SKIP_2) | instid1(VALU_DEP_1)
	s_or_b32 exec_lo, exec_lo, s7
	v_alignbit_b32 v54, v44, v45, v46
	s_mov_b32 s7, exec_lo
	v_and_b32_e32 v5, 0xff, v54
	s_delay_alu instid0(VALU_DEP_1)
	v_cmpx_ne_u16_e32 0, v5
	s_cbranch_execz .LBB2_685
; %bb.676:                              ;   in Loop: Header=BB2_489 Depth=2
	v_bfe_i32 v30, v54, 0, 8
	v_bfrev_b32_e32 v2, 1
	s_mov_b32 s19, exec_lo
	s_delay_alu instid0(VALU_DEP_2)
	v_cmpx_ne_u16_e32 0xff80, v30
	s_cbranch_execz .LBB2_684
; %bb.677:                              ;   in Loop: Header=BB2_489 Depth=2
	v_and_b32_e32 v2, 0x7c, v54
	v_and_b32_e32 v5, 3, v54
	s_delay_alu instid0(VALU_DEP_2) | instskip(SKIP_1) | instid1(SALU_CYCLE_1)
	v_cmp_ne_u32_e32 vcc_lo, 0x7c, v2
                                        ; implicit-def: $vgpr2
	s_and_saveexec_b32 s20, vcc_lo
	s_xor_b32 s20, exec_lo, s20
	s_cbranch_execz .LBB2_681
; %bb.678:                              ;   in Loop: Header=BB2_489 Depth=2
	v_bfe_u32 v2, v54, 2, 5
	s_mov_b32 s21, exec_lo
	s_delay_alu instid0(VALU_DEP_1)
	v_cmpx_eq_u32_e32 0, v2
; %bb.679:                              ;   in Loop: Header=BB2_489 Depth=2
	v_clz_i32_u32_e32 v2, v5
	s_delay_alu instid0(VALU_DEP_1) | instskip(NEXT) | instid1(VALU_DEP_1)
	v_min_u32_e32 v2, 32, v2
	v_subrev_nc_u32_e32 v5, 29, v2
	v_sub_nc_u32_e32 v2, 30, v2
	s_delay_alu instid0(VALU_DEP_2) | instskip(NEXT) | instid1(VALU_DEP_1)
	v_lshlrev_b64_e32 v[118:119], v5, v[54:55]
	v_and_b32_e32 v5, 3, v118
; %bb.680:                              ;   in Loop: Header=BB2_489 Depth=2
	s_or_b32 exec_lo, exec_lo, s21
	v_lshlrev_b32_e32 v30, 24, v54
	s_delay_alu instid0(VALU_DEP_1) | instskip(NEXT) | instid1(VALU_DEP_1)
	v_and_b32_e32 v30, 0x80000000, v30
	v_lshl_add_u32 v2, v2, 23, v30
                                        ; implicit-def: $vgpr30
	s_delay_alu instid0(VALU_DEP_1) | instskip(NEXT) | instid1(VALU_DEP_1)
	v_lshl_or_b32 v2, v5, 21, v2
                                        ; implicit-def: $vgpr5
	v_add_nc_u32_e32 v2, 0x38000000, v2
.LBB2_681:                              ;   in Loop: Header=BB2_489 Depth=2
	s_and_not1_saveexec_b32 s20, s20
; %bb.682:                              ;   in Loop: Header=BB2_489 Depth=2
	v_cmp_lt_i16_e32 vcc_lo, -1, v30
	v_cndmask_b32_e32 v2, 0xff800000, v21, vcc_lo
	v_cmp_eq_u32_e32 vcc_lo, 0, v5
	s_delay_alu instid0(VALU_DEP_2)
	v_cndmask_b32_e32 v2, 0x7f800001, v2, vcc_lo
; %bb.683:                              ;   in Loop: Header=BB2_489 Depth=2
	s_or_b32 exec_lo, exec_lo, s20
.LBB2_684:                              ;   in Loop: Header=BB2_489 Depth=2
	s_delay_alu instid0(SALU_CYCLE_1)
	s_or_b32 exec_lo, exec_lo, s19
.LBB2_685:                              ;   in Loop: Header=BB2_489 Depth=2
	s_delay_alu instid0(SALU_CYCLE_1) | instskip(NEXT) | instid1(VALU_DEP_1)
	s_or_b32 exec_lo, exec_lo, s7
	v_mul_f32_e32 v30, v3, v2
	v_dual_mov_b32 v119, v55 :: v_dual_mov_b32 v3, v55
                                        ; implicit-def: $vgpr44
	s_mov_b32 s7, exec_lo
	s_delay_alu instid0(VALU_DEP_2) | instskip(SKIP_2) | instid1(VALU_DEP_3)
	v_and_b32_e32 v118, 0x7f800000, v30
	v_and_b32_e32 v2, 0x7fffff, v30
	v_lshrrev_b32_e32 v5, 24, v30
	v_cmpx_ne_u64_e32 0x7f800000, v[118:119]
	s_xor_b32 s19, exec_lo, s7
	s_cbranch_execz .LBB2_699
; %bb.686:                              ;   in Loop: Header=BB2_489 Depth=2
	v_and_b32_e32 v118, 0x7fffffff, v30
	v_mov_b32_e32 v119, v55
	v_and_b32_e32 v5, 0x80, v5
                                        ; implicit-def: $vgpr44
	s_mov_b32 s7, exec_lo
	s_delay_alu instid0(VALU_DEP_2)
	v_cmpx_gt_u64_e32 0x47600001, v[118:119]
	s_xor_b32 s20, exec_lo, s7
	s_cbranch_execz .LBB2_696
; %bb.687:                              ;   in Loop: Header=BB2_489 Depth=2
	v_mov_b32_e32 v44, 0
	s_mov_b32 s21, exec_lo
	v_cmpx_ne_u32_e32 0, v30
	s_cbranch_execz .LBB2_695
; %bb.688:                              ;   in Loop: Header=BB2_489 Depth=2
	v_bfe_u32 v30, v30, 23, 8
	v_or_b32_e32 v45, 0x800000, v2
	s_delay_alu instid0(VALU_DEP_2) | instskip(SKIP_1) | instid1(VALU_DEP_2)
	v_sub_nc_u32_e32 v118, 0x71, v30
	v_cmp_gt_u32_e32 vcc_lo, 0x72, v30
	v_cndmask_b32_e32 v118, 0, v118, vcc_lo
	v_cmp_eq_u32_e32 vcc_lo, 0, v30
	s_delay_alu instid0(VALU_DEP_2) | instskip(NEXT) | instid1(VALU_DEP_1)
	v_cndmask_b32_e64 v44, v118, 0x70, vcc_lo
	v_dual_cndmask_b32 v2, v45, v2, vcc_lo :: v_dual_add_nc_u32 v118, 21, v44
	v_add_nc_u32_e32 v46, 20, v44
	s_delay_alu instid0(VALU_DEP_2) | instskip(NEXT) | instid1(VALU_DEP_2)
	v_lshlrev_b64_e64 v[118:119], v118, -1
	v_lshlrev_b64_e64 v[46:47], v46, 1
	s_delay_alu instid0(VALU_DEP_2) | instskip(SKIP_1) | instid1(VALU_DEP_4)
	v_bfi_b32 v118, v118, 0, v2
	v_lshrrev_b64 v[2:3], v44, v[2:3]
	v_bfi_b32 v119, v119, 0, 0
	s_delay_alu instid0(VALU_DEP_1) | instskip(NEXT) | instid1(VALU_DEP_3)
	v_cmp_eq_u64_e64 s7, v[118:119], v[46:47]
	v_mov_b64_e32 v[118:119], v[2:3]
	s_and_saveexec_b32 s22, s7
; %bb.689:                              ;   in Loop: Header=BB2_489 Depth=2
	v_bfe_u32 v118, v2, 21, 1
	v_mov_b32_e32 v119, v55
	s_delay_alu instid0(VALU_DEP_1) | instskip(NEXT) | instid1(VALU_DEP_1)
	v_add_nc_u64_e32 v[118:119], v[2:3], v[118:119]
	v_add_nc_u64_e32 v[118:119], -1, v[118:119]
; %bb.690:                              ;   in Loop: Header=BB2_489 Depth=2
	s_or_b32 exec_lo, exec_lo, s22
	v_add_nc_u32_e32 v3, 0xffffff81, v30
	v_lshrrev_b32_e32 v30, 23, v2
	s_mov_b32 s7, exec_lo
	s_delay_alu instid0(VALU_DEP_2) | instskip(NEXT) | instid1(VALU_DEP_1)
	v_cndmask_b32_e64 v3, v3, 0xffffff82, vcc_lo
	v_add3_u32 v119, v44, v3, v30
	v_and_b32_e32 v3, 0x1fffff, v118
                                        ; implicit-def: $vgpr30
	s_delay_alu instid0(VALU_DEP_1) | instskip(SKIP_1) | instid1(VALU_DEP_2)
	v_dual_add_nc_u32 v118, 14, v119 :: v_dual_add_nc_u32 v2, v3, v2
	v_mov_b32_e32 v3, v55
	v_cmpx_ne_u32_e32 0, v118
	s_xor_b32 s7, exec_lo, s7
; %bb.691:                              ;   in Loop: Header=BB2_489 Depth=2
	s_delay_alu instid0(VALU_DEP_2) | instskip(SKIP_1) | instid1(VALU_DEP_1)
	v_cmp_lt_u64_e32 vcc_lo, 0xffffff, v[2:3]
	v_add_nc_u32_e32 v30, 15, v119
	v_cndmask_b32_e32 v30, v118, v30, vcc_lo
	v_cndmask_b32_e64 v118, 0, 1, vcc_lo
	s_delay_alu instid0(VALU_DEP_1)
	v_lshrrev_b64 v[2:3], v118, v[2:3]
; %bb.692:                              ;   in Loop: Header=BB2_489 Depth=2
	s_and_not1_saveexec_b32 s7, s7
; %bb.693:                              ;   in Loop: Header=BB2_489 Depth=2
	s_delay_alu instid0(VALU_DEP_1)
	v_bfe_u32 v30, v2, 23, 1
; %bb.694:                              ;   in Loop: Header=BB2_489 Depth=2
	s_or_b32 exec_lo, exec_lo, s7
	s_delay_alu instid0(VALU_DEP_2) | instskip(NEXT) | instid1(VALU_DEP_2)
	v_lshrrev_b64 v[2:3], 21, v[2:3]
	v_cmp_gt_i32_e32 vcc_lo, 32, v30
	v_min_i32_e32 v118, 31, v30
	v_cmp_eq_u32_e64 s7, 0, v30
	s_delay_alu instid0(VALU_DEP_2) | instskip(SKIP_1) | instid1(VALU_DEP_2)
	v_dual_cndmask_b32 v3, 0, v3 :: v_dual_lshlrev_b32 v118, 2, v118
	v_cndmask_b32_e32 v2, 3, v2, vcc_lo
	v_and_b32_e32 v118, 0xfc, v118
	s_delay_alu instid0(VALU_DEP_2) | instskip(NEXT) | instid1(VALU_DEP_2)
	v_cmp_eq_u64_e32 vcc_lo, 0, v[2:3]
	v_and_or_b32 v2, v2, 3, v118
	s_and_b32 s7, s7, vcc_lo
	s_delay_alu instid0(VALU_DEP_1) | instid1(SALU_CYCLE_1)
	v_cndmask_b32_e64 v2, v2, 0, s7
	s_delay_alu instid0(VALU_DEP_1)
	v_or_b32_e32 v44, v2, v5
.LBB2_695:                              ;   in Loop: Header=BB2_489 Depth=2
	s_or_b32 exec_lo, exec_lo, s21
                                        ; implicit-def: $vgpr5
.LBB2_696:                              ;   in Loop: Header=BB2_489 Depth=2
	s_and_not1_saveexec_b32 s7, s20
; %bb.697:                              ;   in Loop: Header=BB2_489 Depth=2
	v_or_b32_e32 v44, 0x7b, v5
; %bb.698:                              ;   in Loop: Header=BB2_489 Depth=2
	s_or_b32 exec_lo, exec_lo, s7
                                        ; implicit-def: $vgpr30
                                        ; implicit-def: $vgpr2_vgpr3
                                        ; implicit-def: $vgpr5
.LBB2_699:                              ;   in Loop: Header=BB2_489 Depth=2
	s_and_not1_saveexec_b32 s7, s19
	s_cbranch_execz .LBB2_705
; %bb.700:                              ;   in Loop: Header=BB2_489 Depth=2
	s_mov_b32 s19, exec_lo
                                        ; implicit-def: $vgpr44
	v_cmpx_ne_u64_e32 0, v[2:3]
	s_xor_b32 s19, exec_lo, s19
; %bb.701:                              ;   in Loop: Header=BB2_489 Depth=2
	v_or_b32_e32 v44, 0x7f, v5
                                        ; implicit-def: $vgpr30
; %bb.702:                              ;   in Loop: Header=BB2_489 Depth=2
	s_and_not1_saveexec_b32 s19, s19
; %bb.703:                              ;   in Loop: Header=BB2_489 Depth=2
	v_cmp_lt_i32_e32 vcc_lo, -1, v30
	v_cndmask_b32_e32 v44, 0xfc, v58, vcc_lo
; %bb.704:                              ;   in Loop: Header=BB2_489 Depth=2
	s_or_b32 exec_lo, exec_lo, s19
.LBB2_705:                              ;   in Loop: Header=BB2_489 Depth=2
	s_delay_alu instid0(SALU_CYCLE_1) | instskip(SKIP_3) | instid1(VALU_DEP_2)
	s_or_b32 exec_lo, exec_lo, s7
	v_lshrrev_b16 v2, 8, v4
	v_dual_mov_b32 v5, 0 :: v_dual_mov_b32 v30, 0
	s_mov_b32 s7, exec_lo
	v_cmpx_ne_u16_e32 0, v2
	s_cbranch_execz .LBB2_715
; %bb.706:                              ;   in Loop: Header=BB2_489 Depth=2
	v_bfrev_b32_e32 v30, 1
	s_mov_b32 s19, exec_lo
	v_cmpx_ne_u16_e32 0x80, v2
	s_cbranch_execz .LBB2_714
; %bb.707:                              ;   in Loop: Header=BB2_489 Depth=2
	v_and_b32_e32 v118, 0xffff, v2
	s_delay_alu instid0(VALU_DEP_1) | instskip(SKIP_1) | instid1(VALU_DEP_2)
	v_and_b32_e32 v30, 0x7c, v118
	v_and_b32_e32 v3, 3, v118
	v_cmp_ne_u32_e32 vcc_lo, 0x7c, v30
                                        ; implicit-def: $vgpr30
	s_and_saveexec_b32 s20, vcc_lo
	s_delay_alu instid0(SALU_CYCLE_1)
	s_xor_b32 s20, exec_lo, s20
	s_cbranch_execz .LBB2_711
; %bb.708:                              ;   in Loop: Header=BB2_489 Depth=2
	v_bfe_u32 v30, v118, 2, 5
	s_mov_b32 s21, exec_lo
	s_delay_alu instid0(VALU_DEP_1)
	v_cmpx_eq_u32_e32 0, v30
	s_cbranch_execz .LBB2_710
; %bb.709:                              ;   in Loop: Header=BB2_489 Depth=2
	v_clz_i32_u32_e32 v3, v3
	s_delay_alu instid0(VALU_DEP_1) | instskip(SKIP_1) | instid1(VALU_DEP_2)
	v_min_u32_e32 v30, 32, v3
	v_mov_b32_e32 v3, v55
	v_subrev_nc_u32_e32 v118, 29, v30
	v_sub_nc_u32_e32 v30, 30, v30
	s_delay_alu instid0(VALU_DEP_2) | instskip(NEXT) | instid1(VALU_DEP_1)
	v_lshlrev_b64_e32 v[2:3], v118, v[2:3]
	v_and_b32_e32 v3, 3, v2
.LBB2_710:                              ;   in Loop: Header=BB2_489 Depth=2
	s_or_b32 exec_lo, exec_lo, s21
	v_lshlrev_b32_e32 v2, 16, v4
	s_delay_alu instid0(VALU_DEP_1) | instskip(NEXT) | instid1(VALU_DEP_1)
	v_and_b32_e32 v2, 0x80000000, v2
	v_lshl_add_u32 v2, v30, 23, v2
	s_delay_alu instid0(VALU_DEP_1) | instskip(NEXT) | instid1(VALU_DEP_1)
	v_lshl_or_b32 v2, v3, 21, v2
                                        ; implicit-def: $vgpr3
	v_add_nc_u32_e32 v30, 0x38000000, v2
.LBB2_711:                              ;   in Loop: Header=BB2_489 Depth=2
	s_and_not1_saveexec_b32 s20, s20
; %bb.712:                              ;   in Loop: Header=BB2_489 Depth=2
	v_cmp_lt_i16_e32 vcc_lo, -1, v4
	v_cndmask_b32_e32 v2, 0xff800000, v21, vcc_lo
	v_cmp_eq_u32_e32 vcc_lo, 0, v3
	s_delay_alu instid0(VALU_DEP_2)
	v_cndmask_b32_e32 v30, 0x7f800001, v2, vcc_lo
; %bb.713:                              ;   in Loop: Header=BB2_489 Depth=2
	s_or_b32 exec_lo, exec_lo, s20
.LBB2_714:                              ;   in Loop: Header=BB2_489 Depth=2
	s_delay_alu instid0(SALU_CYCLE_1)
	s_or_b32 exec_lo, exec_lo, s19
.LBB2_715:                              ;   in Loop: Header=BB2_489 Depth=2
	s_delay_alu instid0(SALU_CYCLE_1) | instskip(SKIP_2) | instid1(VALU_DEP_1)
	s_or_b32 exec_lo, exec_lo, s7
	v_lshrrev_b16 v2, 8, v54
	s_mov_b32 s7, exec_lo
	v_cmpx_ne_u16_e32 0, v2
	s_cbranch_execz .LBB2_725
; %bb.716:                              ;   in Loop: Header=BB2_489 Depth=2
	v_bfrev_b32_e32 v5, 1
	s_mov_b32 s19, exec_lo
	v_cmpx_ne_u16_e32 0x80, v2
	s_cbranch_execz .LBB2_724
; %bb.717:                              ;   in Loop: Header=BB2_489 Depth=2
	v_and_b32_e32 v118, 0xffff, v2
	s_delay_alu instid0(VALU_DEP_1) | instskip(SKIP_1) | instid1(VALU_DEP_2)
	v_and_b32_e32 v5, 0x7c, v118
	v_and_b32_e32 v3, 3, v118
	v_cmp_ne_u32_e32 vcc_lo, 0x7c, v5
                                        ; implicit-def: $vgpr5
	s_and_saveexec_b32 s20, vcc_lo
	s_delay_alu instid0(SALU_CYCLE_1)
	s_xor_b32 s20, exec_lo, s20
	s_cbranch_execz .LBB2_721
; %bb.718:                              ;   in Loop: Header=BB2_489 Depth=2
	v_bfe_u32 v5, v118, 2, 5
	s_mov_b32 s21, exec_lo
	s_delay_alu instid0(VALU_DEP_1)
	v_cmpx_eq_u32_e32 0, v5
	s_cbranch_execz .LBB2_720
; %bb.719:                              ;   in Loop: Header=BB2_489 Depth=2
	v_clz_i32_u32_e32 v3, v3
	s_delay_alu instid0(VALU_DEP_1) | instskip(SKIP_1) | instid1(VALU_DEP_2)
	v_min_u32_e32 v5, 32, v3
	v_mov_b32_e32 v3, v55
	v_subrev_nc_u32_e32 v118, 29, v5
	v_sub_nc_u32_e32 v5, 30, v5
	s_delay_alu instid0(VALU_DEP_2) | instskip(NEXT) | instid1(VALU_DEP_1)
	v_lshlrev_b64_e32 v[2:3], v118, v[2:3]
	v_and_b32_e32 v3, 3, v2
.LBB2_720:                              ;   in Loop: Header=BB2_489 Depth=2
	s_or_b32 exec_lo, exec_lo, s21
	v_lshlrev_b32_e32 v2, 16, v54
	s_delay_alu instid0(VALU_DEP_1) | instskip(NEXT) | instid1(VALU_DEP_1)
	v_and_b32_e32 v2, 0x80000000, v2
	v_lshl_add_u32 v2, v5, 23, v2
	s_delay_alu instid0(VALU_DEP_1) | instskip(NEXT) | instid1(VALU_DEP_1)
	v_lshl_or_b32 v2, v3, 21, v2
                                        ; implicit-def: $vgpr3
	v_add_nc_u32_e32 v5, 0x38000000, v2
.LBB2_721:                              ;   in Loop: Header=BB2_489 Depth=2
	s_and_not1_saveexec_b32 s20, s20
; %bb.722:                              ;   in Loop: Header=BB2_489 Depth=2
	v_cmp_lt_i16_e32 vcc_lo, -1, v54
	v_cndmask_b32_e32 v2, 0xff800000, v21, vcc_lo
	v_cmp_eq_u32_e32 vcc_lo, 0, v3
	s_delay_alu instid0(VALU_DEP_2)
	v_cndmask_b32_e32 v5, 0x7f800001, v2, vcc_lo
; %bb.723:                              ;   in Loop: Header=BB2_489 Depth=2
	s_or_b32 exec_lo, exec_lo, s20
.LBB2_724:                              ;   in Loop: Header=BB2_489 Depth=2
	s_delay_alu instid0(SALU_CYCLE_1)
	s_or_b32 exec_lo, exec_lo, s19
.LBB2_725:                              ;   in Loop: Header=BB2_489 Depth=2
	s_delay_alu instid0(SALU_CYCLE_1) | instskip(NEXT) | instid1(VALU_DEP_1)
	s_or_b32 exec_lo, exec_lo, s7
	v_dual_mul_f32 v30, v30, v5 :: v_dual_mov_b32 v119, v55
	v_mov_b32_e32 v3, v55
                                        ; implicit-def: $vgpr45
	s_mov_b32 s7, exec_lo
	s_delay_alu instid0(VALU_DEP_2) | instskip(SKIP_2) | instid1(VALU_DEP_3)
	v_and_b32_e32 v118, 0x7f800000, v30
	v_and_b32_e32 v2, 0x7fffff, v30
	v_lshrrev_b32_e32 v5, 24, v30
	v_cmpx_ne_u64_e32 0x7f800000, v[118:119]
	s_xor_b32 s19, exec_lo, s7
	s_cbranch_execz .LBB2_739
; %bb.726:                              ;   in Loop: Header=BB2_489 Depth=2
	v_and_b32_e32 v118, 0x7fffffff, v30
	v_mov_b32_e32 v119, v55
	v_and_b32_e32 v5, 0x80, v5
                                        ; implicit-def: $vgpr45
	s_mov_b32 s7, exec_lo
	s_delay_alu instid0(VALU_DEP_2)
	v_cmpx_gt_u64_e32 0x47600001, v[118:119]
	s_xor_b32 s20, exec_lo, s7
	s_cbranch_execz .LBB2_736
; %bb.727:                              ;   in Loop: Header=BB2_489 Depth=2
	v_mov_b32_e32 v45, 0
	s_mov_b32 s21, exec_lo
	v_cmpx_ne_u32_e32 0, v30
	s_cbranch_execz .LBB2_735
; %bb.728:                              ;   in Loop: Header=BB2_489 Depth=2
	v_bfe_u32 v30, v30, 23, 8
	v_or_b32_e32 v46, 0x800000, v2
	s_delay_alu instid0(VALU_DEP_2) | instskip(SKIP_1) | instid1(VALU_DEP_2)
	v_sub_nc_u32_e32 v118, 0x71, v30
	v_cmp_gt_u32_e32 vcc_lo, 0x72, v30
	v_cndmask_b32_e32 v118, 0, v118, vcc_lo
	v_cmp_eq_u32_e32 vcc_lo, 0, v30
	s_delay_alu instid0(VALU_DEP_2) | instskip(NEXT) | instid1(VALU_DEP_1)
	v_cndmask_b32_e64 v45, v118, 0x70, vcc_lo
	v_dual_cndmask_b32 v2, v46, v2, vcc_lo :: v_dual_add_nc_u32 v118, 21, v45
	v_add_nc_u32_e32 v47, 20, v45
	s_delay_alu instid0(VALU_DEP_2) | instskip(NEXT) | instid1(VALU_DEP_2)
	v_lshlrev_b64_e64 v[118:119], v118, -1
	v_lshlrev_b64_e64 v[46:47], v47, 1
	s_delay_alu instid0(VALU_DEP_2) | instskip(SKIP_1) | instid1(VALU_DEP_4)
	v_bfi_b32 v118, v118, 0, v2
	v_lshrrev_b64 v[2:3], v45, v[2:3]
	v_bfi_b32 v119, v119, 0, 0
	s_delay_alu instid0(VALU_DEP_1) | instskip(NEXT) | instid1(VALU_DEP_3)
	v_cmp_eq_u64_e64 s7, v[118:119], v[46:47]
	v_mov_b64_e32 v[118:119], v[2:3]
	s_and_saveexec_b32 s22, s7
; %bb.729:                              ;   in Loop: Header=BB2_489 Depth=2
	v_bfe_u32 v118, v2, 21, 1
	v_mov_b32_e32 v119, v55
	s_delay_alu instid0(VALU_DEP_1) | instskip(NEXT) | instid1(VALU_DEP_1)
	v_add_nc_u64_e32 v[118:119], v[2:3], v[118:119]
	v_add_nc_u64_e32 v[118:119], -1, v[118:119]
; %bb.730:                              ;   in Loop: Header=BB2_489 Depth=2
	s_or_b32 exec_lo, exec_lo, s22
	v_add_nc_u32_e32 v3, 0xffffff81, v30
	v_lshrrev_b32_e32 v30, 23, v2
	s_mov_b32 s7, exec_lo
	s_delay_alu instid0(VALU_DEP_2) | instskip(NEXT) | instid1(VALU_DEP_1)
	v_cndmask_b32_e64 v3, v3, 0xffffff82, vcc_lo
	v_add3_u32 v119, v45, v3, v30
	v_and_b32_e32 v3, 0x1fffff, v118
                                        ; implicit-def: $vgpr30
	s_delay_alu instid0(VALU_DEP_1) | instskip(SKIP_1) | instid1(VALU_DEP_2)
	v_dual_add_nc_u32 v118, 14, v119 :: v_dual_add_nc_u32 v2, v3, v2
	v_mov_b32_e32 v3, v55
	v_cmpx_ne_u32_e32 0, v118
	s_xor_b32 s7, exec_lo, s7
; %bb.731:                              ;   in Loop: Header=BB2_489 Depth=2
	s_delay_alu instid0(VALU_DEP_2) | instskip(SKIP_1) | instid1(VALU_DEP_1)
	v_cmp_lt_u64_e32 vcc_lo, 0xffffff, v[2:3]
	v_add_nc_u32_e32 v30, 15, v119
	v_cndmask_b32_e32 v30, v118, v30, vcc_lo
	v_cndmask_b32_e64 v118, 0, 1, vcc_lo
	s_delay_alu instid0(VALU_DEP_1)
	v_lshrrev_b64 v[2:3], v118, v[2:3]
; %bb.732:                              ;   in Loop: Header=BB2_489 Depth=2
	s_and_not1_saveexec_b32 s7, s7
; %bb.733:                              ;   in Loop: Header=BB2_489 Depth=2
	s_delay_alu instid0(VALU_DEP_1)
	v_bfe_u32 v30, v2, 23, 1
; %bb.734:                              ;   in Loop: Header=BB2_489 Depth=2
	s_or_b32 exec_lo, exec_lo, s7
	s_delay_alu instid0(VALU_DEP_2) | instskip(NEXT) | instid1(VALU_DEP_2)
	v_lshrrev_b64 v[2:3], 21, v[2:3]
	v_cmp_gt_i32_e32 vcc_lo, 32, v30
	v_min_i32_e32 v118, 31, v30
	v_cmp_eq_u32_e64 s7, 0, v30
	s_delay_alu instid0(VALU_DEP_2) | instskip(SKIP_1) | instid1(VALU_DEP_2)
	v_dual_cndmask_b32 v3, 0, v3 :: v_dual_lshlrev_b32 v118, 2, v118
	v_cndmask_b32_e32 v2, 3, v2, vcc_lo
	v_and_b32_e32 v118, 0xfc, v118
	s_delay_alu instid0(VALU_DEP_2) | instskip(NEXT) | instid1(VALU_DEP_2)
	v_cmp_eq_u64_e32 vcc_lo, 0, v[2:3]
	v_and_or_b32 v2, v2, 3, v118
	s_and_b32 s7, s7, vcc_lo
	s_delay_alu instid0(VALU_DEP_1) | instid1(SALU_CYCLE_1)
	v_cndmask_b32_e64 v2, v2, 0, s7
	s_delay_alu instid0(VALU_DEP_1)
	v_or_b32_e32 v45, v2, v5
.LBB2_735:                              ;   in Loop: Header=BB2_489 Depth=2
	s_or_b32 exec_lo, exec_lo, s21
                                        ; implicit-def: $vgpr5
.LBB2_736:                              ;   in Loop: Header=BB2_489 Depth=2
	s_and_not1_saveexec_b32 s7, s20
; %bb.737:                              ;   in Loop: Header=BB2_489 Depth=2
	v_or_b32_e32 v45, 0x7b, v5
; %bb.738:                              ;   in Loop: Header=BB2_489 Depth=2
	s_or_b32 exec_lo, exec_lo, s7
                                        ; implicit-def: $vgpr30
                                        ; implicit-def: $vgpr2_vgpr3
                                        ; implicit-def: $vgpr5
.LBB2_739:                              ;   in Loop: Header=BB2_489 Depth=2
	s_and_not1_saveexec_b32 s7, s19
	s_cbranch_execz .LBB2_745
; %bb.740:                              ;   in Loop: Header=BB2_489 Depth=2
	s_mov_b32 s19, exec_lo
                                        ; implicit-def: $vgpr45
	v_cmpx_ne_u64_e32 0, v[2:3]
	s_xor_b32 s19, exec_lo, s19
; %bb.741:                              ;   in Loop: Header=BB2_489 Depth=2
	v_or_b32_e32 v45, 0x7f, v5
                                        ; implicit-def: $vgpr30
; %bb.742:                              ;   in Loop: Header=BB2_489 Depth=2
	s_and_not1_saveexec_b32 s19, s19
; %bb.743:                              ;   in Loop: Header=BB2_489 Depth=2
	v_cmp_lt_i32_e32 vcc_lo, -1, v30
	v_cndmask_b32_e32 v45, 0xfc, v58, vcc_lo
; %bb.744:                              ;   in Loop: Header=BB2_489 Depth=2
	s_or_b32 exec_lo, exec_lo, s19
.LBB2_745:                              ;   in Loop: Header=BB2_489 Depth=2
	s_delay_alu instid0(SALU_CYCLE_1) | instskip(SKIP_3) | instid1(VALU_DEP_2)
	s_or_b32 exec_lo, exec_lo, s7
	v_dual_mov_b32 v3, 0 :: v_dual_lshrrev_b32 v2, 16, v4
	v_mov_b32_e32 v5, 0
	s_mov_b32 s7, exec_lo
	v_and_b32_e32 v30, 0xff, v2
	s_delay_alu instid0(VALU_DEP_1)
	v_cmpx_ne_u16_e32 0, v30
	s_cbranch_execz .LBB2_755
; %bb.746:                              ;   in Loop: Header=BB2_489 Depth=2
	v_bfrev_b32_e32 v5, 1
	s_mov_b32 s19, exec_lo
	v_cmpx_ne_u16_e32 0x80, v30
	s_cbranch_execz .LBB2_754
; %bb.747:                              ;   in Loop: Header=BB2_489 Depth=2
	v_and_b32_e32 v5, 0x7c0000, v4
	v_bfe_u32 v30, v4, 16, 2
	s_delay_alu instid0(VALU_DEP_2) | instskip(SKIP_1) | instid1(SALU_CYCLE_1)
	v_cmp_ne_u32_e32 vcc_lo, 0x7c0000, v5
                                        ; implicit-def: $vgpr5
	s_and_saveexec_b32 s20, vcc_lo
	s_xor_b32 s20, exec_lo, s20
	s_cbranch_execz .LBB2_751
; %bb.748:                              ;   in Loop: Header=BB2_489 Depth=2
	v_bfe_u32 v5, v4, 18, 5
	s_mov_b32 s21, exec_lo
	s_delay_alu instid0(VALU_DEP_1)
	v_cmpx_eq_u32_e32 0, v5
; %bb.749:                              ;   in Loop: Header=BB2_489 Depth=2
	v_clz_i32_u32_e32 v5, v30
	s_delay_alu instid0(VALU_DEP_1) | instskip(NEXT) | instid1(VALU_DEP_1)
	v_min_u32_e32 v5, 32, v5
	v_subrev_nc_u32_e32 v30, 29, v5
	s_delay_alu instid0(VALU_DEP_1) | instskip(NEXT) | instid1(VALU_DEP_1)
	v_lshlrev_b64_e32 v[118:119], v30, v[2:3]
	v_dual_sub_nc_u32 v5, 30, v5 :: v_dual_bitop2_b32 v30, 3, v118 bitop3:0x40
; %bb.750:                              ;   in Loop: Header=BB2_489 Depth=2
	s_or_b32 exec_lo, exec_lo, s21
	v_lshlrev_b32_e32 v2, 24, v2
	s_delay_alu instid0(VALU_DEP_1) | instskip(NEXT) | instid1(VALU_DEP_1)
	v_and_b32_e32 v2, 0x80000000, v2
	v_lshl_add_u32 v2, v5, 23, v2
	s_delay_alu instid0(VALU_DEP_1) | instskip(NEXT) | instid1(VALU_DEP_1)
	v_lshl_or_b32 v2, v30, 21, v2
                                        ; implicit-def: $vgpr30
	v_add_nc_u32_e32 v5, 0x38000000, v2
                                        ; implicit-def: $vgpr2
.LBB2_751:                              ;   in Loop: Header=BB2_489 Depth=2
	s_and_not1_saveexec_b32 s20, s20
; %bb.752:                              ;   in Loop: Header=BB2_489 Depth=2
	v_bfe_i32 v2, v2, 0, 8
	s_delay_alu instid0(VALU_DEP_1) | instskip(SKIP_2) | instid1(VALU_DEP_2)
	v_cmp_lt_i16_e32 vcc_lo, -1, v2
	v_cndmask_b32_e32 v2, 0xff800000, v21, vcc_lo
	v_cmp_eq_u32_e32 vcc_lo, 0, v30
	v_cndmask_b32_e32 v5, 0x7f800001, v2, vcc_lo
; %bb.753:                              ;   in Loop: Header=BB2_489 Depth=2
	s_or_b32 exec_lo, exec_lo, s20
.LBB2_754:                              ;   in Loop: Header=BB2_489 Depth=2
	s_delay_alu instid0(SALU_CYCLE_1)
	s_or_b32 exec_lo, exec_lo, s19
.LBB2_755:                              ;   in Loop: Header=BB2_489 Depth=2
	s_delay_alu instid0(SALU_CYCLE_1) | instskip(SKIP_2) | instid1(VALU_DEP_1)
	s_or_b32 exec_lo, exec_lo, s7
	v_lshrrev_b32_e32 v2, 16, v54
	s_mov_b32 s7, exec_lo
	v_and_b32_e32 v30, 0xff, v2
	s_delay_alu instid0(VALU_DEP_1)
	v_cmpx_ne_u16_e32 0, v30
	s_cbranch_execz .LBB2_765
; %bb.756:                              ;   in Loop: Header=BB2_489 Depth=2
	v_bfrev_b32_e32 v3, 1
	s_mov_b32 s19, exec_lo
	v_cmpx_ne_u16_e32 0x80, v30
	s_cbranch_execz .LBB2_764
; %bb.757:                              ;   in Loop: Header=BB2_489 Depth=2
	v_and_b32_e32 v3, 0x7c0000, v54
	v_bfe_u32 v30, v54, 16, 2
	s_delay_alu instid0(VALU_DEP_2) | instskip(SKIP_1) | instid1(SALU_CYCLE_1)
	v_cmp_ne_u32_e32 vcc_lo, 0x7c0000, v3
                                        ; implicit-def: $vgpr3
	s_and_saveexec_b32 s20, vcc_lo
	s_xor_b32 s20, exec_lo, s20
	s_cbranch_execz .LBB2_761
; %bb.758:                              ;   in Loop: Header=BB2_489 Depth=2
	v_bfe_u32 v3, v54, 18, 5
	s_mov_b32 s21, exec_lo
	s_delay_alu instid0(VALU_DEP_1)
	v_cmpx_eq_u32_e32 0, v3
; %bb.759:                              ;   in Loop: Header=BB2_489 Depth=2
	v_clz_i32_u32_e32 v3, v30
	s_delay_alu instid0(VALU_DEP_1) | instskip(NEXT) | instid1(VALU_DEP_1)
	v_min_u32_e32 v3, 32, v3
	v_subrev_nc_u32_e32 v30, 29, v3
	s_delay_alu instid0(VALU_DEP_1) | instskip(NEXT) | instid1(VALU_DEP_1)
	v_lshlrev_b64_e32 v[118:119], v30, v[2:3]
	v_dual_sub_nc_u32 v3, 30, v3 :: v_dual_bitop2_b32 v30, 3, v118 bitop3:0x40
; %bb.760:                              ;   in Loop: Header=BB2_489 Depth=2
	s_or_b32 exec_lo, exec_lo, s21
	v_lshlrev_b32_e32 v2, 24, v2
	s_delay_alu instid0(VALU_DEP_1) | instskip(NEXT) | instid1(VALU_DEP_1)
	v_and_b32_e32 v2, 0x80000000, v2
	v_lshl_add_u32 v2, v3, 23, v2
	s_delay_alu instid0(VALU_DEP_1) | instskip(NEXT) | instid1(VALU_DEP_1)
	v_lshl_or_b32 v2, v30, 21, v2
                                        ; implicit-def: $vgpr30
	v_add_nc_u32_e32 v3, 0x38000000, v2
                                        ; implicit-def: $vgpr2
.LBB2_761:                              ;   in Loop: Header=BB2_489 Depth=2
	s_and_not1_saveexec_b32 s20, s20
; %bb.762:                              ;   in Loop: Header=BB2_489 Depth=2
	v_bfe_i32 v2, v2, 0, 8
	s_delay_alu instid0(VALU_DEP_1) | instskip(SKIP_2) | instid1(VALU_DEP_2)
	v_cmp_lt_i16_e32 vcc_lo, -1, v2
	v_cndmask_b32_e32 v2, 0xff800000, v21, vcc_lo
	v_cmp_eq_u32_e32 vcc_lo, 0, v30
	v_cndmask_b32_e32 v3, 0x7f800001, v2, vcc_lo
; %bb.763:                              ;   in Loop: Header=BB2_489 Depth=2
	s_or_b32 exec_lo, exec_lo, s20
.LBB2_764:                              ;   in Loop: Header=BB2_489 Depth=2
	s_delay_alu instid0(SALU_CYCLE_1)
	s_or_b32 exec_lo, exec_lo, s19
.LBB2_765:                              ;   in Loop: Header=BB2_489 Depth=2
	s_delay_alu instid0(SALU_CYCLE_1) | instskip(NEXT) | instid1(VALU_DEP_1)
	s_or_b32 exec_lo, exec_lo, s7
	v_dual_mul_f32 v30, v5, v3 :: v_dual_mov_b32 v119, v55
	s_delay_alu instid0(VALU_DEP_1) | instskip(SKIP_2) | instid1(VALU_DEP_2)
	v_dual_mov_b32 v3, v55 :: v_dual_lshrrev_b32 v5, 24, v30
	v_and_b32_e32 v118, 0x7f800000, v30
	v_and_b32_e32 v2, 0x7fffff, v30
	v_cmp_ne_u64_e32 vcc_lo, 0x7f800000, v[118:119]
                                        ; implicit-def: $vgpr118
	s_and_saveexec_b32 s7, vcc_lo
	s_delay_alu instid0(SALU_CYCLE_1)
	s_xor_b32 s19, exec_lo, s7
	s_cbranch_execz .LBB2_779
; %bb.766:                              ;   in Loop: Header=BB2_489 Depth=2
	v_and_b32_e32 v118, 0x7fffffff, v30
	v_mov_b32_e32 v119, v55
	v_and_b32_e32 v5, 0x80, v5
	s_delay_alu instid0(VALU_DEP_2) | instskip(SKIP_1) | instid1(SALU_CYCLE_1)
	v_cmp_gt_u64_e32 vcc_lo, 0x47600001, v[118:119]
                                        ; implicit-def: $vgpr118
	s_and_saveexec_b32 s7, vcc_lo
	s_xor_b32 s20, exec_lo, s7
	s_cbranch_execz .LBB2_776
; %bb.767:                              ;   in Loop: Header=BB2_489 Depth=2
	v_mov_b32_e32 v118, 0
	s_mov_b32 s21, exec_lo
	v_cmpx_ne_u32_e32 0, v30
	s_cbranch_execz .LBB2_775
; %bb.768:                              ;   in Loop: Header=BB2_489 Depth=2
	v_bfe_u32 v30, v30, 23, 8
	v_or_b32_e32 v47, 0x800000, v2
	s_delay_alu instid0(VALU_DEP_2) | instskip(SKIP_1) | instid1(VALU_DEP_2)
	v_sub_nc_u32_e32 v118, 0x71, v30
	v_cmp_gt_u32_e32 vcc_lo, 0x72, v30
	v_cndmask_b32_e32 v118, 0, v118, vcc_lo
	v_cmp_eq_u32_e32 vcc_lo, 0, v30
	s_delay_alu instid0(VALU_DEP_2) | instskip(SKIP_1) | instid1(VALU_DEP_2)
	v_cndmask_b32_e64 v46, v118, 0x70, vcc_lo
	v_cndmask_b32_e32 v2, v47, v2, vcc_lo
	v_dual_add_nc_u32 v118, 21, v46 :: v_dual_add_nc_u32 v61, 20, v46
	s_delay_alu instid0(VALU_DEP_1) | instskip(NEXT) | instid1(VALU_DEP_2)
	v_lshlrev_b64_e64 v[118:119], v118, -1
	v_lshlrev_b64_e64 v[62:63], v61, 1
	s_delay_alu instid0(VALU_DEP_2) | instskip(SKIP_1) | instid1(VALU_DEP_4)
	v_bfi_b32 v118, v118, 0, v2
	v_lshrrev_b64 v[2:3], v46, v[2:3]
	v_bfi_b32 v119, v119, 0, 0
	s_delay_alu instid0(VALU_DEP_1) | instskip(NEXT) | instid1(VALU_DEP_3)
	v_cmp_eq_u64_e64 s7, v[118:119], v[62:63]
	v_mov_b64_e32 v[118:119], v[2:3]
	s_and_saveexec_b32 s22, s7
; %bb.769:                              ;   in Loop: Header=BB2_489 Depth=2
	v_bfe_u32 v118, v2, 21, 1
	v_mov_b32_e32 v119, v55
	s_delay_alu instid0(VALU_DEP_1) | instskip(NEXT) | instid1(VALU_DEP_1)
	v_add_nc_u64_e32 v[118:119], v[2:3], v[118:119]
	v_add_nc_u64_e32 v[118:119], -1, v[118:119]
; %bb.770:                              ;   in Loop: Header=BB2_489 Depth=2
	s_or_b32 exec_lo, exec_lo, s22
	v_add_nc_u32_e32 v3, 0xffffff81, v30
	v_lshrrev_b32_e32 v30, 23, v2
	s_mov_b32 s7, exec_lo
	s_delay_alu instid0(VALU_DEP_2) | instskip(NEXT) | instid1(VALU_DEP_1)
	v_cndmask_b32_e64 v3, v3, 0xffffff82, vcc_lo
	v_add3_u32 v119, v46, v3, v30
	v_and_b32_e32 v3, 0x1fffff, v118
                                        ; implicit-def: $vgpr30
	s_delay_alu instid0(VALU_DEP_1) | instskip(SKIP_1) | instid1(VALU_DEP_2)
	v_dual_add_nc_u32 v118, 14, v119 :: v_dual_add_nc_u32 v2, v3, v2
	v_mov_b32_e32 v3, v55
	v_cmpx_ne_u32_e32 0, v118
	s_xor_b32 s7, exec_lo, s7
; %bb.771:                              ;   in Loop: Header=BB2_489 Depth=2
	s_delay_alu instid0(VALU_DEP_2) | instskip(SKIP_1) | instid1(VALU_DEP_1)
	v_cmp_lt_u64_e32 vcc_lo, 0xffffff, v[2:3]
	v_add_nc_u32_e32 v30, 15, v119
	v_cndmask_b32_e32 v30, v118, v30, vcc_lo
	v_cndmask_b32_e64 v118, 0, 1, vcc_lo
	s_delay_alu instid0(VALU_DEP_1)
	v_lshrrev_b64 v[2:3], v118, v[2:3]
; %bb.772:                              ;   in Loop: Header=BB2_489 Depth=2
	s_and_not1_saveexec_b32 s7, s7
; %bb.773:                              ;   in Loop: Header=BB2_489 Depth=2
	s_delay_alu instid0(VALU_DEP_1)
	v_bfe_u32 v30, v2, 23, 1
; %bb.774:                              ;   in Loop: Header=BB2_489 Depth=2
	s_or_b32 exec_lo, exec_lo, s7
	s_delay_alu instid0(VALU_DEP_2) | instskip(NEXT) | instid1(VALU_DEP_2)
	v_lshrrev_b64 v[2:3], 21, v[2:3]
	v_cmp_gt_i32_e32 vcc_lo, 32, v30
	v_min_i32_e32 v118, 31, v30
	v_cmp_eq_u32_e64 s7, 0, v30
	s_delay_alu instid0(VALU_DEP_2) | instskip(SKIP_1) | instid1(VALU_DEP_2)
	v_dual_cndmask_b32 v3, 0, v3 :: v_dual_lshlrev_b32 v118, 2, v118
	v_cndmask_b32_e32 v2, 3, v2, vcc_lo
	v_and_b32_e32 v118, 0xfc, v118
	s_delay_alu instid0(VALU_DEP_2) | instskip(NEXT) | instid1(VALU_DEP_2)
	v_cmp_eq_u64_e32 vcc_lo, 0, v[2:3]
	v_and_or_b32 v2, v2, 3, v118
	s_and_b32 s7, s7, vcc_lo
	s_delay_alu instid0(VALU_DEP_1) | instid1(SALU_CYCLE_1)
	v_cndmask_b32_e64 v2, v2, 0, s7
	s_delay_alu instid0(VALU_DEP_1)
	v_or_b32_e32 v118, v2, v5
.LBB2_775:                              ;   in Loop: Header=BB2_489 Depth=2
	s_or_b32 exec_lo, exec_lo, s21
                                        ; implicit-def: $vgpr5
.LBB2_776:                              ;   in Loop: Header=BB2_489 Depth=2
	s_and_not1_saveexec_b32 s7, s20
; %bb.777:                              ;   in Loop: Header=BB2_489 Depth=2
	v_or_b32_e32 v118, 0x7b, v5
; %bb.778:                              ;   in Loop: Header=BB2_489 Depth=2
	s_or_b32 exec_lo, exec_lo, s7
                                        ; implicit-def: $vgpr30
                                        ; implicit-def: $vgpr2_vgpr3
                                        ; implicit-def: $vgpr5
.LBB2_779:                              ;   in Loop: Header=BB2_489 Depth=2
	s_and_not1_saveexec_b32 s7, s19
	s_cbranch_execz .LBB2_785
; %bb.780:                              ;   in Loop: Header=BB2_489 Depth=2
	s_mov_b32 s19, exec_lo
                                        ; implicit-def: $vgpr118
	v_cmpx_ne_u64_e32 0, v[2:3]
	s_xor_b32 s19, exec_lo, s19
; %bb.781:                              ;   in Loop: Header=BB2_489 Depth=2
	v_or_b32_e32 v118, 0x7f, v5
                                        ; implicit-def: $vgpr30
; %bb.782:                              ;   in Loop: Header=BB2_489 Depth=2
	s_and_not1_saveexec_b32 s19, s19
; %bb.783:                              ;   in Loop: Header=BB2_489 Depth=2
	v_cmp_lt_i32_e32 vcc_lo, -1, v30
	v_cndmask_b32_e32 v118, 0xfc, v58, vcc_lo
; %bb.784:                              ;   in Loop: Header=BB2_489 Depth=2
	s_or_b32 exec_lo, exec_lo, s19
.LBB2_785:                              ;   in Loop: Header=BB2_489 Depth=2
	s_delay_alu instid0(SALU_CYCLE_1) | instskip(SKIP_3) | instid1(VALU_DEP_2)
	s_or_b32 exec_lo, exec_lo, s7
	v_dual_mov_b32 v2, v55 :: v_dual_mov_b32 v3, v4
	v_dual_mov_b32 v5, 0 :: v_dual_mov_b32 v119, 0
	s_mov_b32 s7, exec_lo
	v_cmpx_lt_u64_e64 s[12:13], v[2:3]
	s_cbranch_execz .LBB2_795
; %bb.786:                              ;   in Loop: Header=BB2_489 Depth=2
	v_lshrrev_b32_e32 v30, 24, v4
	v_bfrev_b32_e32 v119, 1
	s_mov_b32 s19, exec_lo
	s_delay_alu instid0(VALU_DEP_2)
	v_cmpx_ne_u32_e32 0x80, v30
	s_cbranch_execz .LBB2_794
; %bb.787:                              ;   in Loop: Header=BB2_489 Depth=2
	v_and_b32_e32 v119, 0x7c000000, v4
	v_bfe_u32 v46, v4, 24, 2
	s_delay_alu instid0(VALU_DEP_2) | instskip(SKIP_1) | instid1(SALU_CYCLE_1)
	v_cmp_ne_u32_e32 vcc_lo, 0x7c000000, v119
                                        ; implicit-def: $vgpr119
	s_and_saveexec_b32 s20, vcc_lo
	s_xor_b32 s20, exec_lo, s20
	s_cbranch_execz .LBB2_791
; %bb.788:                              ;   in Loop: Header=BB2_489 Depth=2
	v_bfe_u32 v2, v4, 26, 5
	s_mov_b32 s21, exec_lo
	s_delay_alu instid0(VALU_DEP_1)
	v_cmpx_eq_u32_e32 0, v2
; %bb.789:                              ;   in Loop: Header=BB2_489 Depth=2
	v_clz_i32_u32_e32 v2, v46
	s_delay_alu instid0(VALU_DEP_1) | instskip(NEXT) | instid1(VALU_DEP_1)
	v_min_u32_e32 v2, 32, v2
	v_subrev_nc_u32_e32 v3, 29, v2
	v_sub_nc_u32_e32 v2, 30, v2
	s_delay_alu instid0(VALU_DEP_2) | instskip(NEXT) | instid1(VALU_DEP_1)
	v_lshlrev_b64_e32 v[46:47], v3, v[30:31]
	v_and_b32_e32 v46, 3, v46
; %bb.790:                              ;   in Loop: Header=BB2_489 Depth=2
	s_or_b32 exec_lo, exec_lo, s21
	v_and_b32_e32 v3, 0x80000000, v4
	s_delay_alu instid0(VALU_DEP_1) | instskip(NEXT) | instid1(VALU_DEP_1)
	v_lshl_add_u32 v2, v2, 23, v3
	v_lshl_or_b32 v2, v46, 21, v2
                                        ; implicit-def: $vgpr46
	s_delay_alu instid0(VALU_DEP_1)
	v_add_nc_u32_e32 v119, 0x38000000, v2
                                        ; implicit-def: $vgpr2_vgpr3
.LBB2_791:                              ;   in Loop: Header=BB2_489 Depth=2
	s_and_not1_saveexec_b32 s20, s20
; %bb.792:                              ;   in Loop: Header=BB2_489 Depth=2
	v_cmp_lt_i64_e32 vcc_lo, -1, v[2:3]
	v_cndmask_b32_e32 v2, 0xff800000, v21, vcc_lo
	v_cmp_eq_u32_e32 vcc_lo, 0, v46
	s_delay_alu instid0(VALU_DEP_2)
	v_cndmask_b32_e32 v119, 0x7f800001, v2, vcc_lo
; %bb.793:                              ;   in Loop: Header=BB2_489 Depth=2
	s_or_b32 exec_lo, exec_lo, s20
.LBB2_794:                              ;   in Loop: Header=BB2_489 Depth=2
	s_delay_alu instid0(SALU_CYCLE_1)
	s_or_b32 exec_lo, exec_lo, s19
.LBB2_795:                              ;   in Loop: Header=BB2_489 Depth=2
	s_delay_alu instid0(SALU_CYCLE_1) | instskip(NEXT) | instid1(SALU_CYCLE_1)
	s_or_b32 exec_lo, exec_lo, s7
	s_mov_b32 s7, exec_lo
	v_cmpx_lt_u32_e32 0xffffff, v54
	s_cbranch_execz .LBB2_805
; %bb.796:                              ;   in Loop: Header=BB2_489 Depth=2
	v_lshrrev_b32_e32 v2, 24, v54
	v_bfrev_b32_e32 v5, 1
	s_mov_b32 s19, exec_lo
	s_delay_alu instid0(VALU_DEP_2)
	v_cmpx_ne_u32_e32 0x80, v2
	s_cbranch_execz .LBB2_804
; %bb.797:                              ;   in Loop: Header=BB2_489 Depth=2
	v_and_b32_e32 v4, 0x7c000000, v54
	v_bfe_u32 v3, v54, 24, 2
	s_mov_b32 s20, exec_lo
                                        ; implicit-def: $vgpr5
	s_delay_alu instid0(VALU_DEP_2)
	v_cmpx_ne_u32_e32 0x7c000000, v4
	s_xor_b32 s20, exec_lo, s20
	s_cbranch_execz .LBB2_801
; %bb.798:                              ;   in Loop: Header=BB2_489 Depth=2
	v_bfe_u32 v4, v54, 26, 5
	s_mov_b32 s21, exec_lo
	s_delay_alu instid0(VALU_DEP_1)
	v_cmpx_eq_u32_e32 0, v4
; %bb.799:                              ;   in Loop: Header=BB2_489 Depth=2
	v_clz_i32_u32_e32 v3, v3
	s_delay_alu instid0(VALU_DEP_1) | instskip(NEXT) | instid1(VALU_DEP_1)
	v_min_u32_e32 v4, 32, v3
	v_subrev_nc_u32_e32 v3, 29, v4
	s_delay_alu instid0(VALU_DEP_1) | instskip(NEXT) | instid1(VALU_DEP_1)
	v_lshlrev_b64_e32 v[2:3], v3, v[2:3]
	v_dual_sub_nc_u32 v4, 30, v4 :: v_dual_bitop2_b32 v3, 3, v2 bitop3:0x40
; %bb.800:                              ;   in Loop: Header=BB2_489 Depth=2
	s_or_b32 exec_lo, exec_lo, s21
	v_and_b32_e32 v2, 0x80000000, v54
	s_delay_alu instid0(VALU_DEP_1) | instskip(NEXT) | instid1(VALU_DEP_1)
	v_lshl_add_u32 v2, v4, 23, v2
	v_lshl_or_b32 v2, v3, 21, v2
                                        ; implicit-def: $vgpr3
	s_delay_alu instid0(VALU_DEP_1)
	v_add_nc_u32_e32 v5, 0x38000000, v2
.LBB2_801:                              ;   in Loop: Header=BB2_489 Depth=2
	s_and_not1_saveexec_b32 s20, s20
; %bb.802:                              ;   in Loop: Header=BB2_489 Depth=2
	v_cmp_lt_i32_e32 vcc_lo, -1, v54
	v_cndmask_b32_e32 v2, 0xff800000, v21, vcc_lo
	v_cmp_eq_u32_e32 vcc_lo, 0, v3
	s_delay_alu instid0(VALU_DEP_2)
	v_cndmask_b32_e32 v5, 0x7f800001, v2, vcc_lo
; %bb.803:                              ;   in Loop: Header=BB2_489 Depth=2
	s_or_b32 exec_lo, exec_lo, s20
.LBB2_804:                              ;   in Loop: Header=BB2_489 Depth=2
	s_delay_alu instid0(SALU_CYCLE_1)
	s_or_b32 exec_lo, exec_lo, s19
.LBB2_805:                              ;   in Loop: Header=BB2_489 Depth=2
	s_delay_alu instid0(SALU_CYCLE_1) | instskip(NEXT) | instid1(VALU_DEP_1)
	s_or_b32 exec_lo, exec_lo, s7
	v_mul_f32_e32 v3, v119, v5
	v_mov_b32_e32 v5, v55
                                        ; implicit-def: $vgpr2
	s_delay_alu instid0(VALU_DEP_2) | instskip(SKIP_1) | instid1(VALU_DEP_2)
	v_and_b32_e32 v4, 0x7f800000, v3
	v_and_b32_e32 v54, 0x7fffff, v3
	v_cmp_ne_u64_e32 vcc_lo, 0x7f800000, v[4:5]
	v_lshrrev_b32_e32 v4, 24, v3
	s_and_saveexec_b32 s7, vcc_lo
	s_delay_alu instid0(SALU_CYCLE_1)
	s_xor_b32 s19, exec_lo, s7
	s_cbranch_execz .LBB2_819
; %bb.806:                              ;   in Loop: Header=BB2_489 Depth=2
	v_and_b32_e32 v46, 0x7fffffff, v3
	v_mov_b32_e32 v47, v55
	v_and_b32_e32 v30, 0x80, v4
                                        ; implicit-def: $vgpr2
	s_mov_b32 s7, exec_lo
	s_delay_alu instid0(VALU_DEP_2)
	v_cmpx_gt_u64_e32 0x47600001, v[46:47]
	s_xor_b32 s20, exec_lo, s7
	s_cbranch_execz .LBB2_816
; %bb.807:                              ;   in Loop: Header=BB2_489 Depth=2
	v_mov_b32_e32 v2, 0
	s_mov_b32 s21, exec_lo
	v_cmpx_ne_u32_e32 0, v3
	s_cbranch_execz .LBB2_815
; %bb.808:                              ;   in Loop: Header=BB2_489 Depth=2
	v_bfe_u32 v119, v3, 23, 8
	v_or_b32_e32 v4, 0x800000, v54
	s_delay_alu instid0(VALU_DEP_2) | instskip(SKIP_1) | instid1(VALU_DEP_2)
	v_sub_nc_u32_e32 v2, 0x71, v119
	v_cmp_gt_u32_e32 vcc_lo, 0x72, v119
	v_cndmask_b32_e32 v2, 0, v2, vcc_lo
	v_cmp_eq_u32_e32 vcc_lo, 0, v119
	s_delay_alu instid0(VALU_DEP_2) | instskip(SKIP_1) | instid1(VALU_DEP_2)
	v_cndmask_b32_e64 v46, v2, 0x70, vcc_lo
	v_cndmask_b32_e32 v54, v4, v54, vcc_lo
	v_dual_add_nc_u32 v2, 21, v46 :: v_dual_add_nc_u32 v5, 20, v46
	s_delay_alu instid0(VALU_DEP_1) | instskip(NEXT) | instid1(VALU_DEP_2)
	v_lshlrev_b64_e64 v[2:3], v2, -1
	v_lshlrev_b64_e64 v[4:5], v5, 1
	s_delay_alu instid0(VALU_DEP_2) | instskip(NEXT) | instid1(VALU_DEP_3)
	v_bfi_b32 v63, v3, 0, 0
	v_bfi_b32 v62, v2, 0, v54
	v_lshrrev_b64 v[2:3], v46, v[54:55]
	s_delay_alu instid0(VALU_DEP_2) | instskip(NEXT) | instid1(VALU_DEP_2)
	v_cmp_eq_u64_e64 s7, v[62:63], v[4:5]
	v_mov_b64_e32 v[4:5], v[2:3]
	s_and_saveexec_b32 s22, s7
; %bb.809:                              ;   in Loop: Header=BB2_489 Depth=2
	v_bfe_u32 v54, v2, 21, 1
	s_delay_alu instid0(VALU_DEP_1) | instskip(NEXT) | instid1(VALU_DEP_1)
	v_add_nc_u64_e32 v[4:5], v[2:3], v[54:55]
	v_add_nc_u64_e32 v[4:5], -1, v[4:5]
; %bb.810:                              ;   in Loop: Header=BB2_489 Depth=2
	s_or_b32 exec_lo, exec_lo, s22
	v_add_nc_u32_e32 v3, 0xffffff81, v119
	v_lshrrev_b32_e32 v5, 23, v2
	s_mov_b32 s7, exec_lo
	s_delay_alu instid0(VALU_DEP_2) | instskip(NEXT) | instid1(VALU_DEP_1)
	v_cndmask_b32_e64 v3, v3, 0xffffff82, vcc_lo
	v_add3_u32 v5, v46, v3, v5
	v_and_b32_e32 v3, 0x1fffff, v4
                                        ; implicit-def: $vgpr4
	s_delay_alu instid0(VALU_DEP_1) | instskip(NEXT) | instid1(VALU_DEP_1)
	v_dual_add_nc_u32 v119, 14, v5 :: v_dual_add_nc_u32 v54, v3, v2
                                        ; implicit-def: $vgpr2_vgpr3
	v_cmpx_ne_u32_e32 0, v119
	s_xor_b32 s7, exec_lo, s7
; %bb.811:                              ;   in Loop: Header=BB2_489 Depth=2
	s_delay_alu instid0(VALU_DEP_2) | instskip(SKIP_1) | instid1(VALU_DEP_1)
	v_cmp_lt_u64_e32 vcc_lo, 0xffffff, v[54:55]
	v_add_nc_u32_e32 v2, 15, v5
	v_cndmask_b32_e32 v4, v119, v2, vcc_lo
	v_cndmask_b32_e64 v2, 0, 1, vcc_lo
	s_delay_alu instid0(VALU_DEP_1)
	v_lshrrev_b64 v[2:3], v2, v[54:55]
; %bb.812:                              ;   in Loop: Header=BB2_489 Depth=2
	s_and_not1_saveexec_b32 s7, s7
; %bb.813:                              ;   in Loop: Header=BB2_489 Depth=2
	v_mov_b64_e32 v[2:3], v[54:55]
	v_bfe_u32 v4, v54, 23, 1
; %bb.814:                              ;   in Loop: Header=BB2_489 Depth=2
	s_or_b32 exec_lo, exec_lo, s7
	s_delay_alu instid0(VALU_DEP_2) | instskip(NEXT) | instid1(VALU_DEP_2)
	v_lshrrev_b64 v[2:3], 21, v[2:3]
	v_cmp_gt_i32_e32 vcc_lo, 32, v4
	v_min_i32_e32 v5, 31, v4
	v_cmp_eq_u32_e64 s7, 0, v4
	s_delay_alu instid0(VALU_DEP_2) | instskip(SKIP_1) | instid1(VALU_DEP_2)
	v_dual_cndmask_b32 v3, 0, v3, vcc_lo :: v_dual_lshlrev_b32 v5, 2, v5
	v_cndmask_b32_e32 v2, 3, v2, vcc_lo
	v_and_b32_e32 v5, 0xfc, v5
	s_delay_alu instid0(VALU_DEP_2) | instskip(NEXT) | instid1(VALU_DEP_2)
	v_cmp_eq_u64_e32 vcc_lo, 0, v[2:3]
	v_and_or_b32 v2, v2, 3, v5
	s_and_b32 s7, s7, vcc_lo
	s_delay_alu instid0(VALU_DEP_1) | instid1(SALU_CYCLE_1)
	v_cndmask_b32_e64 v2, v2, 0, s7
	s_delay_alu instid0(VALU_DEP_1)
	v_or_b32_e32 v2, v2, v30
.LBB2_815:                              ;   in Loop: Header=BB2_489 Depth=2
	s_or_b32 exec_lo, exec_lo, s21
                                        ; implicit-def: $vgpr30
.LBB2_816:                              ;   in Loop: Header=BB2_489 Depth=2
	s_and_not1_saveexec_b32 s7, s20
; %bb.817:                              ;   in Loop: Header=BB2_489 Depth=2
	v_or_b32_e32 v2, 0x7b, v30
; %bb.818:                              ;   in Loop: Header=BB2_489 Depth=2
	s_or_b32 exec_lo, exec_lo, s7
                                        ; implicit-def: $vgpr3
                                        ; implicit-def: $vgpr4
.LBB2_819:                              ;   in Loop: Header=BB2_489 Depth=2
	s_and_not1_saveexec_b32 s7, s19
	s_cbranch_execz .LBB2_825
; %bb.820:                              ;   in Loop: Header=BB2_489 Depth=2
	s_mov_b32 s19, exec_lo
                                        ; implicit-def: $vgpr2
	v_cmpx_ne_u64_e32 0, v[54:55]
	s_xor_b32 s19, exec_lo, s19
; %bb.821:                              ;   in Loop: Header=BB2_489 Depth=2
	v_or_b32_e32 v2, 0x7f, v4
                                        ; implicit-def: $vgpr3
; %bb.822:                              ;   in Loop: Header=BB2_489 Depth=2
	s_and_not1_saveexec_b32 s19, s19
; %bb.823:                              ;   in Loop: Header=BB2_489 Depth=2
	v_cmp_lt_i32_e32 vcc_lo, -1, v3
	v_cndmask_b32_e32 v2, 0xfc, v58, vcc_lo
; %bb.824:                              ;   in Loop: Header=BB2_489 Depth=2
	s_or_b32 exec_lo, exec_lo, s19
.LBB2_825:                              ;   in Loop: Header=BB2_489 Depth=2
	s_delay_alu instid0(SALU_CYCLE_1) | instskip(SKIP_1) | instid1(VALU_DEP_2)
	s_or_b32 exec_lo, exec_lo, s7
	v_dual_lshlrev_b32 v3, 16, v40 :: v_dual_lshlrev_b32 v4, 16, v118
	v_dual_lshlrev_b32 v5, 24, v41 :: v_dual_lshlrev_b32 v30, 24, v2
	v_cmp_lt_u32_e32 vcc_lo, 7, v60
	s_delay_alu instid0(VALU_DEP_3) | instskip(NEXT) | instid1(VALU_DEP_4)
	v_lshl_or_b32 v2, v43, 8, v3
	v_lshl_or_b32 v3, v45, 8, v4
	s_mov_b32 s7, -1
	s_cmp_lg_u32 vcc_lo, exec_lo
	s_delay_alu instid0(VALU_DEP_2) | instskip(NEXT) | instid1(VALU_DEP_2)
	v_or3_b32 v2, v2, v5, v117
	v_or3_b32 v3, v3, v30, v44
	s_cbranch_scc0 .LBB2_841
; %bb.826:                              ;   in Loop: Header=BB2_489 Depth=2
	s_mov_b32 s19, exec_lo
	flat_store_b8 v[18:19], v117
	s_wait_xcnt 0x0
	v_cmpx_ne_u32_e32 1, v60
	s_cbranch_execz .LBB2_828
; %bb.827:                              ;   in Loop: Header=BB2_489 Depth=2
	v_lshrrev_b32_e32 v4, 8, v2
	flat_store_b8 v[18:19], v4 offset:1
.LBB2_828:                              ;   in Loop: Header=BB2_489 Depth=2
	s_wait_xcnt 0x0
	s_or_b32 exec_lo, exec_lo, s19
	s_delay_alu instid0(SALU_CYCLE_1)
	s_mov_b32 s19, exec_lo
	v_cmpx_lt_u32_e32 2, v60
	s_cbranch_execz .LBB2_830
; %bb.829:                              ;   in Loop: Header=BB2_489 Depth=2
	flat_store_d16_hi_b8 v[18:19], v2 offset:2
.LBB2_830:                              ;   in Loop: Header=BB2_489 Depth=2
	s_wait_xcnt 0x0
	s_or_b32 exec_lo, exec_lo, s19
	s_delay_alu instid0(SALU_CYCLE_1)
	s_mov_b32 s19, exec_lo
	v_cmpx_lt_u32_e32 3, v60
	s_cbranch_execz .LBB2_832
; %bb.831:                              ;   in Loop: Header=BB2_489 Depth=2
	v_lshrrev_b32_e32 v4, 24, v2
	flat_store_b8 v[18:19], v4 offset:3
.LBB2_832:                              ;   in Loop: Header=BB2_489 Depth=2
	s_wait_xcnt 0x0
	s_or_b32 exec_lo, exec_lo, s19
	s_delay_alu instid0(SALU_CYCLE_1)
	s_mov_b32 s19, exec_lo
	v_cmpx_lt_u32_e32 4, v60
	s_cbranch_execz .LBB2_834
; %bb.833:                              ;   in Loop: Header=BB2_489 Depth=2
	flat_store_b8 v[18:19], v44 offset:4
.LBB2_834:                              ;   in Loop: Header=BB2_489 Depth=2
	s_wait_xcnt 0x0
	s_or_b32 exec_lo, exec_lo, s19
	s_delay_alu instid0(SALU_CYCLE_1)
	s_mov_b32 s19, exec_lo
	v_cmpx_lt_u32_e32 5, v60
	s_cbranch_execz .LBB2_836
; %bb.835:                              ;   in Loop: Header=BB2_489 Depth=2
	v_lshrrev_b32_e32 v4, 8, v3
	flat_store_b8 v[18:19], v4 offset:5
.LBB2_836:                              ;   in Loop: Header=BB2_489 Depth=2
	s_wait_xcnt 0x0
	s_or_b32 exec_lo, exec_lo, s19
	s_delay_alu instid0(SALU_CYCLE_1)
	s_mov_b32 s19, exec_lo
	v_cmpx_lt_u32_e32 6, v60
	s_cbranch_execz .LBB2_838
; %bb.837:                              ;   in Loop: Header=BB2_489 Depth=2
	flat_store_d16_hi_b8 v[18:19], v3 offset:6
.LBB2_838:                              ;   in Loop: Header=BB2_489 Depth=2
	s_wait_xcnt 0x0
	s_or_b32 exec_lo, exec_lo, s19
	s_and_saveexec_b32 s7, vcc_lo
	s_cbranch_execz .LBB2_840
; %bb.839:                              ;   in Loop: Header=BB2_489 Depth=2
	v_lshrrev_b32_e32 v4, 24, v3
	flat_store_b8 v[18:19], v4 offset:7
.LBB2_840:                              ;   in Loop: Header=BB2_489 Depth=2
	s_wait_xcnt 0x0
	s_or_b32 exec_lo, exec_lo, s7
	s_mov_b32 s7, 0
.LBB2_841:                              ;   in Loop: Header=BB2_489 Depth=2
	s_delay_alu instid0(SALU_CYCLE_1)
	s_and_b32 vcc_lo, exec_lo, s7
	s_cbranch_vccz .LBB2_488
; %bb.842:                              ;   in Loop: Header=BB2_489 Depth=2
	global_store_b64 v[18:19], v[2:3], off
	s_branch .LBB2_488
.LBB2_843:                              ;   in Loop: Header=BB2_36 Depth=1
	s_or_b32 exec_lo, exec_lo, s18
	s_delay_alu instid0(SALU_CYCLE_1)
	s_or_b32 exec_lo, exec_lo, s8
	s_and_saveexec_b32 s7, s3
	s_cbranch_execz .LBB2_486
.LBB2_844:                              ;   in Loop: Header=BB2_36 Depth=1
	s_and_saveexec_b32 s8, s4
	s_delay_alu instid0(SALU_CYCLE_1)
	s_xor_b32 s8, exec_lo, s8
	s_cbranch_execz .LBB2_859
; %bb.845:                              ;   in Loop: Header=BB2_36 Depth=1
	s_and_saveexec_b32 s18, s5
	s_cbranch_execz .LBB2_858
; %bb.846:                              ;   in Loop: Header=BB2_36 Depth=1
	s_mov_b32 s20, exec_lo
	s_mov_b32 s19, exec_lo
	v_mbcnt_lo_u32_b32 v2, s20, 0
	global_wb scope:SCOPE_DEV
	s_wait_storecnt 0x0
	s_wait_loadcnt_dscnt 0x0
	global_inv scope:SCOPE_DEV
	v_cmpx_eq_u32_e32 0, v2
	s_cbranch_execz .LBB2_848
; %bb.847:                              ;   in Loop: Header=BB2_36 Depth=1
	s_bcnt1_i32_b32 s20, s20
	s_delay_alu instid0(SALU_CYCLE_1)
	v_mov_b32_e32 v54, s20
	s_wait_loadcnt 0x0
	ds_add_u64 v0, v[54:55]
	s_trap 2
.LBB2_848:                              ;   in Loop: Header=BB2_36 Depth=1
	s_or_b32 exec_lo, exec_lo, s19
	s_trap 2
	ds_load_b64 v[2:3], v0
	s_wait_dscnt 0x0
	v_add_nc_u64_e32 v[52:53], v[52:53], v[84:85]
	s_mov_b32 s19, exec_lo
	s_delay_alu instid0(VALU_DEP_1)
	v_cmpx_lt_u64_e64 v[2:3], v[52:53]
	s_cbranch_execz .LBB2_857
; %bb.849:                              ;   in Loop: Header=BB2_36 Depth=1
	s_mov_b32 s20, 0
	s_mov_b32 s23, 0
                                        ; implicit-def: $sgpr21
                                        ; implicit-def: $sgpr22
	s_branch .LBB2_851
.LBB2_850:                              ;   in Loop: Header=BB2_851 Depth=2
	s_or_b32 exec_lo, exec_lo, s25
	s_delay_alu instid0(SALU_CYCLE_1) | instskip(NEXT) | instid1(SALU_CYCLE_1)
	s_and_b32 s24, exec_lo, s26
	s_or_b32 s20, s24, s20
	s_and_not1_b32 s21, s21, exec_lo
	s_and_b32 s24, s22, exec_lo
	s_delay_alu instid0(SALU_CYCLE_1)
	s_or_b32 s21, s21, s24
	s_and_not1_b32 exec_lo, exec_lo, s20
	s_cbranch_execz .LBB2_855
.LBB2_851:                              ;   Parent Loop BB2_36 Depth=1
                                        ; =>  This Inner Loop Header: Depth=2
	s_add_co_i32 s23, s23, 1
	s_delay_alu instid0(SALU_CYCLE_1) | instskip(SKIP_1) | instid1(SALU_CYCLE_1)
	s_cmp_lg_u32 s23, 0x2710
	s_cselect_b32 s24, -1, 0
	s_and_b32 vcc_lo, exec_lo, s24
	s_cbranch_vccz .LBB2_853
; %bb.852:                              ;   in Loop: Header=BB2_851 Depth=2
	s_mov_b32 s26, -1
	s_or_b32 s22, s22, exec_lo
	s_and_saveexec_b32 s25, s24
	s_cbranch_execz .LBB2_850
	s_branch .LBB2_854
.LBB2_853:                              ;   in Loop: Header=BB2_851 Depth=2
	s_trap 2
	ds_load_b64 v[2:3], v0
	s_and_not1_b32 s24, s24, exec_lo
	s_mov_b32 s23, 0
	s_wait_loadcnt_dscnt 0x0
	flat_load_b32 v2, v[2:3] scope:SCOPE_SYS
	s_wait_loadcnt_dscnt 0x0
	global_inv scope:SCOPE_SYS
	v_cmp_eq_u32_e32 vcc_lo, 0, v2
	s_and_b32 s25, vcc_lo, exec_lo
	s_delay_alu instid0(SALU_CYCLE_1)
	s_or_b32 s24, s24, s25
	s_mov_b32 s26, -1
	s_or_b32 s22, s22, exec_lo
	s_and_saveexec_b32 s25, s24
	s_cbranch_execz .LBB2_850
.LBB2_854:                              ;   in Loop: Header=BB2_851 Depth=2
	s_sleep 1
	s_trap 2
	ds_load_b64 v[2:3], v0
	s_wait_dscnt 0x0
	s_and_not1_b32 s22, s22, exec_lo
	v_cmp_ge_u64_e32 vcc_lo, v[2:3], v[52:53]
	s_or_not1_b32 s26, vcc_lo, exec_lo
	s_branch .LBB2_850
.LBB2_855:                              ;   in Loop: Header=BB2_36 Depth=1
	s_or_b32 exec_lo, exec_lo, s20
	s_and_saveexec_b32 s20, s21
	s_delay_alu instid0(SALU_CYCLE_1)
	s_xor_b32 s20, exec_lo, s20
	s_cbranch_execz .LBB2_857
; %bb.856:                              ;   in Loop: Header=BB2_36 Depth=1
	ds_store_b32 v0, v1
	s_trap 2
.LBB2_857:                              ;   in Loop: Header=BB2_36 Depth=1
	s_or_b32 exec_lo, exec_lo, s19
	;;#ASMSTART
	s_wakeup
	;;#ASMEND
.LBB2_858:                              ;   in Loop: Header=BB2_36 Depth=1
	s_or_b32 exec_lo, exec_lo, s18
.LBB2_859:                              ;   in Loop: Header=BB2_36 Depth=1
	s_and_not1_saveexec_b32 s8, s8
	s_cbranch_execz .LBB2_861
; %bb.860:                              ;   in Loop: Header=BB2_36 Depth=1
	global_wb scope:SCOPE_DEV
	s_wait_storecnt 0x0
	s_wait_loadcnt_dscnt 0x0
	global_inv scope:SCOPE_DEV
	s_barrier_signal -1
	s_barrier_wait -1
.LBB2_861:                              ;   in Loop: Header=BB2_36 Depth=1
	s_or_b32 exec_lo, exec_lo, s8
	s_delay_alu instid0(SALU_CYCLE_1)
	s_or_b32 exec_lo, exec_lo, s7
	s_and_saveexec_b32 s7, s6
	s_cbranch_execz .LBB2_35
.LBB2_862:                              ;   in Loop: Header=BB2_36 Depth=1
	v_add_nc_u64_e32 v[38:39], 1, v[38:39]
	global_wb scope:SCOPE_SYS
	s_wait_storecnt 0x0
	s_wait_loadcnt_dscnt 0x0
	flat_store_b64 v[48:49], v[38:39] scope:SCOPE_SYS
	s_branch .LBB2_35
.LBB2_863:
	s_or_b32 exec_lo, exec_lo, s16
	s_delay_alu instid0(SALU_CYCLE_1)
	s_or_b32 exec_lo, exec_lo, s14
	s_and_saveexec_b32 s1, s9
	s_cbranch_execz .LBB2_20
.LBB2_864:
	s_wait_dscnt 0x0
	flat_store_b64 v[28:29], v[38:39] offset:104
	s_wait_xcnt 0x0
	s_or_b32 exec_lo, exec_lo, s1
	s_and_saveexec_b32 s1, s0
	s_cbranch_execnz .LBB2_21
	s_branch .LBB2_22
.LBB2_865:
	s_or_b32 exec_lo, exec_lo, s4
	s_and_saveexec_b32 s4, s5
	s_delay_alu instid0(SALU_CYCLE_1)
	s_xor_b32 s4, exec_lo, s4
	s_cbranch_execz .LBB2_867
; %bb.866:
	v_mov_b32_e32 v0, 1
	ds_store_b32 v0, v0
	s_trap 2
.LBB2_867:
	s_or_b32 exec_lo, exec_lo, s3
	;;#ASMSTART
	s_wakeup
	;;#ASMEND
.LBB2_868:
	s_or_b32 exec_lo, exec_lo, s2
.LBB2_869:
	s_and_not1_saveexec_b32 s1, s1
	s_cbranch_execz .LBB2_871
; %bb.870:
	global_wb scope:SCOPE_DEV
	s_wait_storecnt 0x0
	s_wait_loadcnt_dscnt 0x0
	global_inv scope:SCOPE_DEV
	s_barrier_signal -1
	s_barrier_wait -1
.LBB2_871:
	s_or_b32 exec_lo, exec_lo, s0
	s_clause 0x17
	scratch_load_b32 v79, off, s32
	scratch_load_b32 v78, off, s32 offset:4
	scratch_load_b32 v77, off, s32 offset:8
	;; [unrolled: 1-line block ×23, first 2 shown]
	s_wait_loadcnt_dscnt 0x0
	s_set_pc_i64 s[30:31]
.Lfunc_end2:
	.size	_ZN12_GLOBAL__N_17runRingI14__hip_fp8_e5m28FuncProdIS1_E7ProtoLLLi0ELi2ELi0EEEviiP15ncclDevWorkColl, .Lfunc_end2-_ZN12_GLOBAL__N_17runRingI14__hip_fp8_e5m28FuncProdIS1_E7ProtoLLLi0ELi2ELi0EEEviiP15ncclDevWorkColl
                                        ; -- End function
	.set .L_ZN12_GLOBAL__N_17runRingI14__hip_fp8_e5m28FuncProdIS1_E7ProtoLLLi0ELi2ELi0EEEviiP15ncclDevWorkColl.num_vgpr, 120
	.set .L_ZN12_GLOBAL__N_17runRingI14__hip_fp8_e5m28FuncProdIS1_E7ProtoLLLi0ELi2ELi0EEEviiP15ncclDevWorkColl.num_agpr, 0
	.set .L_ZN12_GLOBAL__N_17runRingI14__hip_fp8_e5m28FuncProdIS1_E7ProtoLLLi0ELi2ELi0EEEviiP15ncclDevWorkColl.numbered_sgpr, 41
	.set .L_ZN12_GLOBAL__N_17runRingI14__hip_fp8_e5m28FuncProdIS1_E7ProtoLLLi0ELi2ELi0EEEviiP15ncclDevWorkColl.num_named_barrier, 0
	.set .L_ZN12_GLOBAL__N_17runRingI14__hip_fp8_e5m28FuncProdIS1_E7ProtoLLLi0ELi2ELi0EEEviiP15ncclDevWorkColl.private_seg_size, 100
	.set .L_ZN12_GLOBAL__N_17runRingI14__hip_fp8_e5m28FuncProdIS1_E7ProtoLLLi0ELi2ELi0EEEviiP15ncclDevWorkColl.uses_vcc, 1
	.set .L_ZN12_GLOBAL__N_17runRingI14__hip_fp8_e5m28FuncProdIS1_E7ProtoLLLi0ELi2ELi0EEEviiP15ncclDevWorkColl.uses_flat_scratch, 1
	.set .L_ZN12_GLOBAL__N_17runRingI14__hip_fp8_e5m28FuncProdIS1_E7ProtoLLLi0ELi2ELi0EEEviiP15ncclDevWorkColl.has_dyn_sized_stack, 0
	.set .L_ZN12_GLOBAL__N_17runRingI14__hip_fp8_e5m28FuncProdIS1_E7ProtoLLLi0ELi2ELi0EEEviiP15ncclDevWorkColl.has_recursion, 0
	.set .L_ZN12_GLOBAL__N_17runRingI14__hip_fp8_e5m28FuncProdIS1_E7ProtoLLLi0ELi2ELi0EEEviiP15ncclDevWorkColl.has_indirect_call, 0
	.section	.AMDGPU.csdata,"",@progbits
; Function info:
; codeLenInByte = 25892
; TotalNumSgprs: 43
; NumVgprs: 120
; ScratchSize: 100
; MemoryBound: 0
	.text
	.p2align	2                               ; -- Begin function _Z51ncclDevFunc_ReduceScatter_RING_LL_Prod_f8e5m2_0_0_2v
	.type	_Z51ncclDevFunc_ReduceScatter_RING_LL_Prod_f8e5m2_0_0_2v,@function
_Z51ncclDevFunc_ReduceScatter_RING_LL_Prod_f8e5m2_0_0_2v: ; @_Z51ncclDevFunc_ReduceScatter_RING_LL_Prod_f8e5m2_0_0_2v
; %bb.0:
	s_wait_loadcnt_dscnt 0x0
	s_wait_kmcnt 0x0
	s_mov_b32 s56, s33
	s_mov_b32 s33, s32
	s_or_saveexec_b32 s0, -1
	scratch_store_b32 off, v41, s33 offset:4 ; 4-byte Folded Spill
	s_wait_xcnt 0x0
	s_mov_b32 exec_lo, s0
	s_add_co_i32 s32, s32, 16
	scratch_store_b32 off, v40, s33         ; 4-byte Folded Spill
	v_writelane_b32 v41, s30, 0
	v_writelane_b32 v41, s31, 1
	s_trap 2
	ds_load_b32 v0, v0
	s_wait_dscnt 0x0
	v_cmp_gt_i32_e32 vcc_lo, 1, v0
	s_cbranch_vccnz .LBB3_8
; %bb.1:
	s_wait_xcnt 0x0
	v_and_b32_e32 v40, 0x3ff, v31
	s_mov_b32 s41, s12
	s_mov_b64 s[42:43], s[8:9]
	s_mov_b32 s46, 0
	s_get_pc_i64 s[44:45]
	s_add_nc_u64 s[44:45], s[44:45], _ZN12_GLOBAL__N_17runRingI14__hip_fp8_e5m28FuncProdIS1_E7ProtoLLLi0ELi2ELi0EEEviiP15ncclDevWorkColl@rel64+4
	s_branch .LBB3_3
.LBB3_2:                                ;   in Loop: Header=BB3_3 Depth=1
	s_or_b32 exec_lo, exec_lo, s47
	s_trap 2
	ds_load_b32 v0, v0
	s_add_co_i32 s46, s46, 1
	s_wait_dscnt 0x0
	v_cmp_lt_i32_e32 vcc_lo, s46, v0
	s_cbranch_vccz .LBB3_8
.LBB3_3:                                ; =>This Inner Loop Header: Depth=1
	s_trap 2
	ds_load_b32 v0, v0
	s_cmp_eq_u32 s46, 0
	s_cbranch_scc1 .LBB3_6
; %bb.4:                                ;   in Loop: Header=BB3_3 Depth=1
	s_trap 2
	s_wait_dscnt 0x0
	ds_load_b32 v1, v0
	s_wait_dscnt 0x0
	v_xor_b32_e32 v1, v1, v0
	s_delay_alu instid0(VALU_DEP_1) | instskip(NEXT) | instid1(VALU_DEP_1)
	v_and_b32_e32 v1, 0xff0000, v1
	v_cmp_eq_u32_e32 vcc_lo, 0, v1
	s_cbranch_vccnz .LBB3_6
; %bb.5:                                ;   in Loop: Header=BB3_3 Depth=1
	s_wait_storecnt 0x0
	s_barrier_signal -1
	s_barrier_wait -1
	ds_load_b32 v0, v0
.LBB3_6:                                ;   in Loop: Header=BB3_3 Depth=1
	s_wait_dscnt 0x0
	v_lshrrev_b32_e32 v0, 11, v0
	s_mov_b32 s47, exec_lo
	s_delay_alu instid0(VALU_DEP_1) | instskip(NEXT) | instid1(VALU_DEP_1)
	v_and_b32_e32 v1, 0x1fe0, v0
	v_cmpx_lt_u32_e64 v40, v1
	s_cbranch_execz .LBB3_2
; %bb.7:                                ;   in Loop: Header=BB3_3 Depth=1
	s_mov_b64 s[0:1], src_shared_base
	s_delay_alu instid0(SALU_CYCLE_1)
	v_dual_mov_b32 v0, v40 :: v_dual_mov_b32 v3, s1
	s_mov_b64 s[8:9], s[42:43]
	s_mov_b32 s12, s41
	s_swap_pc_i64 s[30:31], s[44:45]
	s_branch .LBB3_2
.LBB3_8:
	scratch_load_b32 v40, off, s33          ; 4-byte Folded Reload
	v_readlane_b32 s30, v41, 0
	v_readlane_b32 s31, v41, 1
	s_mov_b32 s32, s33
	s_wait_xcnt 0x0
	s_or_saveexec_b32 s0, -1
	scratch_load_b32 v41, off, s33 offset:4 ; 4-byte Folded Reload
	s_wait_xcnt 0x0
	s_mov_b32 exec_lo, s0
	s_mov_b32 s33, s56
	s_wait_loadcnt 0x0
	s_set_pc_i64 s[30:31]
.Lfunc_end3:
	.size	_Z51ncclDevFunc_ReduceScatter_RING_LL_Prod_f8e5m2_0_0_2v, .Lfunc_end3-_Z51ncclDevFunc_ReduceScatter_RING_LL_Prod_f8e5m2_0_0_2v
                                        ; -- End function
	.set .L_Z51ncclDevFunc_ReduceScatter_RING_LL_Prod_f8e5m2_0_0_2v.num_vgpr, max(42, .L_ZN12_GLOBAL__N_17runRingI14__hip_fp8_e5m28FuncProdIS1_E7ProtoLLLi0ELi2ELi0EEEviiP15ncclDevWorkColl.num_vgpr)
	.set .L_Z51ncclDevFunc_ReduceScatter_RING_LL_Prod_f8e5m2_0_0_2v.num_agpr, max(0, .L_ZN12_GLOBAL__N_17runRingI14__hip_fp8_e5m28FuncProdIS1_E7ProtoLLLi0ELi2ELi0EEEviiP15ncclDevWorkColl.num_agpr)
	.set .L_Z51ncclDevFunc_ReduceScatter_RING_LL_Prod_f8e5m2_0_0_2v.numbered_sgpr, max(57, .L_ZN12_GLOBAL__N_17runRingI14__hip_fp8_e5m28FuncProdIS1_E7ProtoLLLi0ELi2ELi0EEEviiP15ncclDevWorkColl.numbered_sgpr)
	.set .L_Z51ncclDevFunc_ReduceScatter_RING_LL_Prod_f8e5m2_0_0_2v.num_named_barrier, max(0, .L_ZN12_GLOBAL__N_17runRingI14__hip_fp8_e5m28FuncProdIS1_E7ProtoLLLi0ELi2ELi0EEEviiP15ncclDevWorkColl.num_named_barrier)
	.set .L_Z51ncclDevFunc_ReduceScatter_RING_LL_Prod_f8e5m2_0_0_2v.private_seg_size, 16+max(.L_ZN12_GLOBAL__N_17runRingI14__hip_fp8_e5m28FuncProdIS1_E7ProtoLLLi0ELi2ELi0EEEviiP15ncclDevWorkColl.private_seg_size)
	.set .L_Z51ncclDevFunc_ReduceScatter_RING_LL_Prod_f8e5m2_0_0_2v.uses_vcc, or(1, .L_ZN12_GLOBAL__N_17runRingI14__hip_fp8_e5m28FuncProdIS1_E7ProtoLLLi0ELi2ELi0EEEviiP15ncclDevWorkColl.uses_vcc)
	.set .L_Z51ncclDevFunc_ReduceScatter_RING_LL_Prod_f8e5m2_0_0_2v.uses_flat_scratch, or(0, .L_ZN12_GLOBAL__N_17runRingI14__hip_fp8_e5m28FuncProdIS1_E7ProtoLLLi0ELi2ELi0EEEviiP15ncclDevWorkColl.uses_flat_scratch)
	.set .L_Z51ncclDevFunc_ReduceScatter_RING_LL_Prod_f8e5m2_0_0_2v.has_dyn_sized_stack, or(0, .L_ZN12_GLOBAL__N_17runRingI14__hip_fp8_e5m28FuncProdIS1_E7ProtoLLLi0ELi2ELi0EEEviiP15ncclDevWorkColl.has_dyn_sized_stack)
	.set .L_Z51ncclDevFunc_ReduceScatter_RING_LL_Prod_f8e5m2_0_0_2v.has_recursion, or(1, .L_ZN12_GLOBAL__N_17runRingI14__hip_fp8_e5m28FuncProdIS1_E7ProtoLLLi0ELi2ELi0EEEviiP15ncclDevWorkColl.has_recursion)
	.set .L_Z51ncclDevFunc_ReduceScatter_RING_LL_Prod_f8e5m2_0_0_2v.has_indirect_call, or(0, .L_ZN12_GLOBAL__N_17runRingI14__hip_fp8_e5m28FuncProdIS1_E7ProtoLLLi0ELi2ELi0EEEviiP15ncclDevWorkColl.has_indirect_call)
	.section	.AMDGPU.csdata,"",@progbits
; Function info:
; codeLenInByte = 396
; TotalNumSgprs: 59
; NumVgprs: 120
; ScratchSize: 116
; MemoryBound: 0
	.text
	.p2align	2                               ; -- Begin function _ZN12_GLOBAL__N_17runRingI14__hip_fp8_e5m28FuncProdIS1_E7ProtoLLLi0ELi4ELi0EEEviiP15ncclDevWorkColl
	.type	_ZN12_GLOBAL__N_17runRingI14__hip_fp8_e5m28FuncProdIS1_E7ProtoLLLi0ELi4ELi0EEEviiP15ncclDevWorkColl,@function
_ZN12_GLOBAL__N_17runRingI14__hip_fp8_e5m28FuncProdIS1_E7ProtoLLLi0ELi4ELi0EEEviiP15ncclDevWorkColl: ; @_ZN12_GLOBAL__N_17runRingI14__hip_fp8_e5m28FuncProdIS1_E7ProtoLLLi0ELi4ELi0EEEviiP15ncclDevWorkColl
; %bb.0:
	s_wait_loadcnt_dscnt 0x0
	s_wait_kmcnt 0x0
	s_clause 0x17
	scratch_store_b32 off, v40, s32 offset:92
	; meta instruction
	scratch_store_b32 off, v41, s32 offset:88
	; meta instruction
	scratch_store_b32 off, v42, s32 offset:84
	; meta instruction
	scratch_store_b32 off, v43, s32 offset:80
	; meta instruction
	scratch_store_b32 off, v44, s32 offset:76
	; meta instruction
	scratch_store_b32 off, v45, s32 offset:72
	; meta instruction
	scratch_store_b32 off, v46, s32 offset:68
	; meta instruction
	scratch_store_b32 off, v47, s32 offset:64
	; meta instruction
	scratch_store_b32 off, v56, s32 offset:60
	; meta instruction
	scratch_store_b32 off, v57, s32 offset:56
	; meta instruction
	scratch_store_b32 off, v58, s32 offset:52
	; meta instruction
	scratch_store_b32 off, v59, s32 offset:48
	; meta instruction
	scratch_store_b32 off, v60, s32 offset:44
	; meta instruction
	scratch_store_b32 off, v61, s32 offset:40
	; meta instruction
	scratch_store_b32 off, v62, s32 offset:36
	; meta instruction
	scratch_store_b32 off, v63, s32 offset:32
	; meta instruction
	scratch_store_b32 off, v72, s32 offset:28
	; meta instruction
	scratch_store_b32 off, v73, s32 offset:24
	; meta instruction
	scratch_store_b32 off, v74, s32 offset:20
	; meta instruction
	scratch_store_b32 off, v75, s32 offset:16
	; meta instruction
	scratch_store_b32 off, v76, s32 offset:12
	; meta instruction
	scratch_store_b32 off, v77, s32 offset:8
	; meta instruction
	scratch_store_b32 off, v78, s32 offset:4
	; meta instruction
	scratch_store_b32 off, v79, s32
	s_trap 2
	s_clause 0x2
	flat_load_b32 v12, v[2:3]
	flat_load_b128 v[4:7], v[2:3] offset:72
	flat_load_b64 v[68:69], v[2:3] offset:88
	v_mov_b32_e32 v20, v1
	ds_load_b32 v8, v0
	ds_load_b64 v[22:23], v0
	s_mov_b32 s0, exec_lo
                                        ; implicit-def: $vgpr54_vgpr55
                                        ; implicit-def: $vgpr24_vgpr25
	s_wait_dscnt 0x1
	v_readfirstlane_b32 s10, v8
	s_wait_loadcnt 0x2
	v_bfe_u32 v9, v12, 8, 8
	v_bitop3_b32 v1, v12, 0xff, v12 bitop3:0x3f
	s_delay_alu instid0(VALU_DEP_1) | instskip(NEXT) | instid1(VALU_DEP_1)
	v_add_nc_u32_e32 v10, v9, v1
	v_ashrrev_i32_e32 v11, 31, v10
	s_wait_loadcnt 0x1
	s_delay_alu instid0(VALU_DEP_1) | instskip(SKIP_2) | instid1(VALU_DEP_1)
	v_mul_u64_e32 v[18:19], v[6:7], v[10:11]
	v_and_b32_e32 v10, 0xff, v12
	s_wait_xcnt 0x0
	v_cmpx_ne_u32_e64 v8, v10
	s_xor_b32 s0, exec_lo, s0
	s_cbranch_execz .LBB4_6
; %bb.1:
	s_mov_b32 s1, exec_lo
                                        ; implicit-def: $vgpr54_vgpr55
                                        ; implicit-def: $vgpr24_vgpr25
	v_cmpx_ne_u32_e64 v8, v9
	s_xor_b32 s1, exec_lo, s1
	s_cbranch_execz .LBB4_3
; %bb.2:
	flat_load_b64 v[10:11], v[2:3] offset:96
	v_add_nc_u32_e32 v1, v8, v1
	s_delay_alu instid0(VALU_DEP_1) | instskip(NEXT) | instid1(VALU_DEP_1)
	v_mad_nc_u64_u32 v[24:25], v6, v1, v[4:5]
	v_mad_u32 v8, v7, v1, v25
	v_ashrrev_i32_e32 v1, 31, v1
	s_delay_alu instid0(VALU_DEP_1)
	v_mad_u32 v25, v6, v1, v8
	s_wait_loadcnt_dscnt 0x0
	v_lshrrev_b64 v[54:55], 17, v[10:11]
.LBB4_3:
	s_wait_xcnt 0x0
	s_and_not1_saveexec_b32 s1, s1
	s_cbranch_execz .LBB4_5
; %bb.4:
	flat_load_b32 v1, v[2:3] offset:100
	v_add_nc_u64_e32 v[24:25], v[18:19], v[4:5]
	s_wait_loadcnt 0x1
	v_mov_b64_e32 v[6:7], v[68:69]
	s_wait_loadcnt_dscnt 0x0
	v_lshrrev_b32_e32 v54, 6, v1
.LBB4_5:
	s_wait_xcnt 0x0
	s_or_b32 exec_lo, exec_lo, s1
.LBB4_6:
	s_and_not1_saveexec_b32 s0, s0
	s_cbranch_execz .LBB4_8
; %bb.7:
	flat_load_b64 v[6:7], v[2:3] offset:96
	v_mov_b64_e32 v[24:25], 0
	s_wait_loadcnt_dscnt 0x0
	v_lshlrev_b64_e32 v[54:55], 4, v[6:7]
	v_mov_b64_e32 v[6:7], v[4:5]
.LBB4_8:
	s_wait_xcnt 0x0
	s_or_b32 exec_lo, exec_lo, s0
	s_load_b32 s0, s[8:9], 0x0
	s_clause 0x1
	flat_load_u16 v13, v[2:3] offset:8
	flat_load_b32 v12, v[2:3] offset:4
	s_bfe_u32 s1, ttmp6, 0x4000c
	s_and_b32 s2, ttmp6, 15
	s_add_co_i32 s1, s1, 1
	s_getreg_b32 s3, hwreg(HW_REG_IB_STS2, 6, 4)
	s_mul_i32 s1, ttmp9, s1
	v_mov_b32_e32 v1, 0
	s_add_co_i32 s2, s2, s1
	s_cmp_eq_u32 s3, 0
	s_mov_b32 s1, 0
	s_cselect_b32 s2, ttmp9, s2
	v_mov_b64_e32 v[26:27], 0
	s_wait_kmcnt 0x0
	s_cmp_lt_u32 s2, s0
	s_cselect_b32 s0, 12, 18
	s_delay_alu instid0(SALU_CYCLE_1)
	s_add_nc_u64 s[2:3], s[8:9], s[0:1]
	flat_load_b128 v[8:11], v[2:3] offset:16
	global_load_u16 v21, v1, s[2:3]
	s_wait_xcnt 0x0
	v_ashrrev_i32_e32 v1, 31, v0
	s_trap 2
	ds_load_b32 v2, v0
	v_lshrrev_b32_e32 v3, 27, v1
	s_delay_alu instid0(VALU_DEP_1) | instskip(NEXT) | instid1(VALU_DEP_1)
	v_add_nc_u32_e32 v3, v0, v3
	v_and_b32_e32 v3, 0xffffffe0, v3
	s_wait_dscnt 0x0
	v_cmp_gt_i32_e32 vcc_lo, 0, v2
	v_readfirstlane_b32 s2, v2
	s_and_b32 vcc_lo, exec_lo, vcc_lo
	s_wait_loadcnt 0x2
	v_lshrrev_b64 v[14:15], 31, v[12:13]
	v_sub_nc_u32_e32 v12, v0, v3
	s_delay_alu instid0(VALU_DEP_1) | instskip(NEXT) | instid1(VALU_DEP_3)
	v_cmp_eq_u32_e64 s0, 0, v12
	v_and_b32_e32 v3, 3, v14
	s_delay_alu instid0(VALU_DEP_1)
	v_and_b32_e32 v13, 0xffff, v3
	s_cbranch_vccnz .LBB4_10
; %bb.9:
	s_trap 2
	ds_load_b64 v[14:15], v0
	s_mov_b32 s1, 1
	s_wait_dscnt 0x0
	v_readfirstlane_b32 s4, v14
	v_readfirstlane_b32 s5, v15
	flat_load_b64 v[2:3], v2, s[4:5] scale_offset
	s_wait_loadcnt_dscnt 0x0
	v_mad_nc_u64_u32 v[2:3], 0xa8, v13, v[2:3]
	s_clause 0x1
	flat_load_b64 v[32:33], v[2:3] offset:504
	flat_load_b64 v[34:35], v[2:3] offset:608
	v_add_nc_u64_e32 v[28:29], 0x1f8, v[2:3]
	s_wait_xcnt 0x0
	s_delay_alu instid0(VALU_DEP_1)
	v_dual_cndmask_b32 v3, 0, v29, s0 :: v_dual_cndmask_b32 v2, 0, v28, s0
	s_branch .LBB4_11
.LBB4_10:
	v_mov_b64_e32 v[28:29], 0
	v_mov_b64_e32 v[2:3], 0
                                        ; implicit-def: $vgpr34_vgpr35
                                        ; implicit-def: $vgpr32_vgpr33
.LBB4_11:
	s_trap 2
	ds_load_b32 v14, v0
	s_wait_dscnt 0x0
	v_cmp_gt_i32_e32 vcc_lo, 0, v14
	s_cbranch_vccnz .LBB4_13
; %bb.12:
	s_trap 2
	ds_load_b64 v[16:17], v0
	v_cmp_eq_u32_e32 vcc_lo, 0, v12
	s_wait_dscnt 0x0
	v_readfirstlane_b32 s4, v16
	v_readfirstlane_b32 s5, v17
	flat_load_b64 v[14:15], v14, s[4:5] scale_offset
	s_wait_loadcnt_dscnt 0x0
	v_mad_nc_u64_u32 v[26:27], 0xa8, v13, v[14:15]
	s_clause 0x1
	flat_load_b64 v[36:37], v[26:27]
	flat_load_b64 v[16:17], v[26:27] offset:104
	v_dual_cndmask_b32 v53, 0, v27 :: v_dual_cndmask_b32 v52, 0, v26
	s_branch .LBB4_14
.LBB4_13:
	v_mov_b64_e32 v[52:53], 0
                                        ; implicit-def: $vgpr16_vgpr17
                                        ; implicit-def: $vgpr36_vgpr37
.LBB4_14:
	s_wait_xcnt 0x2
	v_subrev_nc_u32_e32 v14, 32, v20
	v_cmp_gt_i32_e32 vcc_lo, s1, v12
	v_mov_b64_e32 v[12:13], 0
	v_mov_b64_e32 v[48:49], 0
                                        ; implicit-def: $vgpr38_vgpr39
	s_delay_alu instid0(VALU_DEP_4)
	v_cmp_ge_i32_e64 s0, v0, v14
	s_and_b32 s9, s0, vcc_lo
	s_wait_xcnt 0x0
	s_and_saveexec_b32 s0, s9
	s_cbranch_execz .LBB4_16
; %bb.15:
	s_clause 0x1
	flat_load_b64 v[48:49], v[2:3] offset:56
	flat_load_b64 v[38:39], v[2:3] offset:104
.LBB4_16:
	s_wait_xcnt 0x0
	s_or_b32 exec_lo, exec_lo, s0
	v_mov_b64_e32 v[50:51], 0
	v_cmp_gt_i32_e64 s0, s1, v0
                                        ; implicit-def: $vgpr64_vgpr65
	s_and_saveexec_b32 s1, s0
	s_cbranch_execz .LBB4_18
; %bb.17:
	flat_load_b64 v[50:51], v[52:53] offset:56
	s_wait_loadcnt_dscnt 0x0
	flat_load_b64 v[64:65], v[50:51] scope:SCOPE_SYS
	s_wait_loadcnt 0x0
	flat_load_b128 v[12:15], v[52:53] offset:96
.LBB4_18:
	s_wait_xcnt 0x0
	s_or_b32 exec_lo, exec_lo, s1
	v_mov_b64_e32 v[52:53], 0
	s_wait_loadcnt 0x0
	v_and_b32_e32 v56, 0xffff, v21
	s_mov_b32 s14, exec_lo
	v_cmpx_ne_u64_e32 0, v[6:7]
	s_cbranch_execnz .LBB4_34
; %bb.19:
	s_or_b32 exec_lo, exec_lo, s14
	s_and_saveexec_b32 s1, s9
	s_cbranch_execnz .LBB4_864
.LBB4_20:
	s_or_b32 exec_lo, exec_lo, s1
	s_and_saveexec_b32 s1, s0
	s_cbranch_execz .LBB4_22
.LBB4_21:
	s_wait_dscnt 0x0
	flat_store_b64 v[26:27], v[14:15] offset:104
.LBB4_22:
	s_wait_xcnt 0x0
	s_or_b32 exec_lo, exec_lo, s1
	s_delay_alu instid0(SALU_CYCLE_1)
	s_mov_b32 s0, exec_lo
	v_cmpx_ne_u32_e32 32, v20
	s_cbranch_execz .LBB4_871
; %bb.23:
	s_mov_b32 s1, exec_lo
	v_cmpx_ne_u32_e64 v20, v56
	s_xor_b32 s1, exec_lo, s1
	s_cbranch_execz .LBB4_869
; %bb.24:
	v_and_b32_e32 v0, 31, v31
	s_mov_b32 s2, exec_lo
	s_delay_alu instid0(VALU_DEP_1)
	v_cmpx_eq_u32_e32 0, v0
	s_cbranch_execz .LBB4_868
; %bb.25:
	s_mov_b32 s4, exec_lo
	s_mov_b32 s3, exec_lo
	v_mbcnt_lo_u32_b32 v0, s4, 0
	global_wb scope:SCOPE_DEV
	s_wait_storecnt 0x0
	s_wait_loadcnt_dscnt 0x0
	global_inv scope:SCOPE_DEV
	v_cmpx_eq_u32_e32 0, v0
	s_cbranch_execz .LBB4_27
; %bb.26:
	s_bcnt1_i32_b32 s4, s4
	s_delay_alu instid0(SALU_CYCLE_1)
	v_dual_mov_b32 v1, 0 :: v_dual_mov_b32 v0, s4
	s_wait_loadcnt 0x0
	ds_add_u64 v0, v[0:1]
	s_trap 2
.LBB4_27:
	s_or_b32 exec_lo, exec_lo, s3
	s_trap 2
	ds_load_b64 v[2:3], v0
	s_wait_dscnt 0x0
	v_dual_mov_b32 v1, 0 :: v_dual_lshrrev_b32 v0, 5, v20
	s_mov_b32 s3, exec_lo
	s_delay_alu instid0(VALU_DEP_1) | instskip(NEXT) | instid1(VALU_DEP_1)
	v_add_nc_u64_e32 v[0:1], v[52:53], v[0:1]
	v_cmpx_lt_u64_e64 v[2:3], v[0:1]
	s_cbranch_execz .LBB4_867
; %bb.28:
	s_mov_b32 s4, 0
	s_mov_b32 s7, 0
                                        ; implicit-def: $sgpr5
                                        ; implicit-def: $sgpr6
	s_branch .LBB4_30
.LBB4_29:                               ;   in Loop: Header=BB4_30 Depth=1
	s_or_b32 exec_lo, exec_lo, s9
	s_delay_alu instid0(SALU_CYCLE_1) | instskip(NEXT) | instid1(SALU_CYCLE_1)
	s_and_b32 s8, exec_lo, s10
	s_or_b32 s4, s8, s4
	s_and_not1_b32 s5, s5, exec_lo
	s_and_b32 s8, s6, exec_lo
	s_delay_alu instid0(SALU_CYCLE_1)
	s_or_b32 s5, s5, s8
	s_and_not1_b32 exec_lo, exec_lo, s4
	s_cbranch_execz .LBB4_865
.LBB4_30:                               ; =>This Inner Loop Header: Depth=1
	s_add_co_i32 s7, s7, 1
	s_delay_alu instid0(SALU_CYCLE_1) | instskip(SKIP_1) | instid1(SALU_CYCLE_1)
	s_cmp_lg_u32 s7, 0x2710
	s_cselect_b32 s8, -1, 0
	s_and_b32 vcc_lo, exec_lo, s8
	s_cbranch_vccz .LBB4_32
; %bb.31:                               ;   in Loop: Header=BB4_30 Depth=1
	s_mov_b32 s10, -1
	s_or_b32 s6, s6, exec_lo
	s_and_saveexec_b32 s9, s8
	s_cbranch_execz .LBB4_29
	s_branch .LBB4_33
.LBB4_32:                               ;   in Loop: Header=BB4_30 Depth=1
	s_trap 2
	ds_load_b64 v[2:3], v0
	s_and_not1_b32 s8, s8, exec_lo
	s_mov_b32 s7, 0
	s_wait_loadcnt_dscnt 0x0
	flat_load_b32 v2, v[2:3] scope:SCOPE_SYS
	s_wait_loadcnt_dscnt 0x0
	global_inv scope:SCOPE_SYS
	v_cmp_eq_u32_e32 vcc_lo, 0, v2
	s_and_b32 s9, vcc_lo, exec_lo
	s_delay_alu instid0(SALU_CYCLE_1)
	s_or_b32 s8, s8, s9
	s_mov_b32 s10, -1
	s_or_b32 s6, s6, exec_lo
	s_and_saveexec_b32 s9, s8
	s_cbranch_execz .LBB4_29
.LBB4_33:                               ;   in Loop: Header=BB4_30 Depth=1
	s_sleep 1
	s_trap 2
	ds_load_b64 v[2:3], v0
	s_wait_dscnt 0x0
	s_and_not1_b32 s6, s6, exec_lo
	v_cmp_ge_u64_e32 vcc_lo, v[2:3], v[0:1]
	s_or_not1_b32 s10, vcc_lo, exec_lo
	s_branch .LBB4_29
.LBB4_34:
	v_add_nc_u64_e32 v[2:3], v[68:69], v[4:5]
	v_mov_b32_e32 v55, 0
	s_ashr_i32 s1, s2, 31
	s_ashr_i32 s11, s10, 31
	s_lshr_b32 s1, s1, 29
	v_mov_b64_e32 v[80:81], 0
	s_add_co_i32 s2, s2, s1
	v_add_nc_u64_e32 v[68:69], v[2:3], v[18:19]
	v_dual_mov_b32 v67, v55 :: v_dual_bitop2_b32 v2, 31, v31 bitop3:0x40
	v_lshlrev_b32_e32 v82, 3, v0
	v_dual_mov_b32 v87, v55 :: v_dual_lshrrev_b32 v84, 5, v20
	v_mov_b32_e32 v21, v55
	s_delay_alu instid0(VALU_DEP_4)
	v_cmp_eq_u32_e64 s5, 0, v2
	v_add_nc_u64_e32 v[2:3], v[24:25], v[10:11]
	v_ashrrev_i32_e32 v83, 31, v82
	s_ashr_i32 s4, s2, 3
	s_ashr_i32 s15, s2, 7
	s_lshl_b64 s[2:3], s[10:11], 2
	v_cmp_ne_u64_e64 s1, 0, v[50:51]
	v_add_nc_u64_e32 v[70:71], s[2:3], v[22:23]
	s_wait_dscnt 0x0
	v_cmp_ne_u64_e64 s2, 0, v[12:13]
	v_add_nc_u64_e32 v[96:97], v[10:11], v[82:83]
	v_cmp_ne_u64_e64 s6, 0, v[48:49]
	v_add_nc_u64_e32 v[8:9], v[8:9], v[82:83]
	v_add_nc_u64_e32 v[98:99], v[2:3], v[82:83]
	v_lshlrev_b64_e32 v[102:103], 4, v[20:21]
	v_mov_b64_e32 v[52:53], 0
	v_and_b32_e32 v66, 0x1fffff0, v54
	s_and_b32 s11, s4, -16
	v_cmp_ne_u32_e64 s3, 32, v20
	v_cmp_ne_u32_e64 s4, v20, v56
	v_dual_mov_b32 v85, v55 :: v_dual_lshlrev_b32 v86, 3, v20
	v_lshlrev_b32_e32 v57, 6, v20
	v_lshl_add_u64 v[100:101], v[0:1], 4, v[36:37]
	v_mov_b32_e32 v1, 1
	v_mov_b32_e32 v21, 0x7f800000
	v_dual_mov_b32 v58, 0x7c :: v_dual_mov_b32 v59, 0
	s_cmp_gt_i32 s10, 2
	s_mov_b64 s[12:13], 0xffffffffffffff
	s_mov_b32 s16, 0
	s_cselect_b32 s17, -1, 0
	s_branch .LBB4_36
.LBB4_35:                               ;   in Loop: Header=BB4_36 Depth=1
	s_wait_xcnt 0x0
	s_or_b32 exec_lo, exec_lo, s7
	v_add_nc_u64_e32 v[80:81], v[80:81], v[66:67]
	v_add_nc_u64_e32 v[34:35], 1, v[34:35]
	;; [unrolled: 1-line block ×3, first 2 shown]
	s_delay_alu instid0(VALU_DEP_3) | instskip(SKIP_1) | instid1(SALU_CYCLE_1)
	v_cmp_ge_u64_e32 vcc_lo, v[80:81], v[6:7]
	s_or_b32 s16, vcc_lo, s16
	s_and_not1_b32 exec_lo, exec_lo, s16
	s_cbranch_execz .LBB4_863
.LBB4_36:                               ; =>This Loop Header: Depth=1
                                        ;     Child Loop BB4_41 Depth 2
                                        ;     Child Loop BB4_60 Depth 2
	;; [unrolled: 1-line block ×5, first 2 shown]
                                        ;       Child Loop BB4_90 Depth 3
                                        ;       Child Loop BB4_109 Depth 3
                                        ;       Child Loop BB4_130 Depth 3
                                        ;         Child Loop BB4_138 Depth 4
                                        ;       Child Loop BB4_473 Depth 3
                                        ;       Child Loop BB4_126 Depth 3
                                        ;     Child Loop BB4_489 Depth 2
                                        ;       Child Loop BB4_497 Depth 3
                                        ;     Child Loop BB4_851 Depth 2
	s_wait_loadcnt_dscnt 0x0
	flat_load_b32 v19, v[70:71] offset:-4
	v_sub_nc_u64_e32 v[2:3], v[6:7], v[80:81]
	s_delay_alu instid0(VALU_DEP_1) | instskip(NEXT) | instid1(VALU_DEP_1)
	v_min_u64 v[2:3], v[66:67], v[2:3]
	v_lshl_add_u32 v3, v2, 1, 14
	s_delay_alu instid0(VALU_DEP_1)
	v_and_b32_e32 v30, 0x7fffff0, v3
	s_wait_xcnt 0x0
	s_and_saveexec_b32 s8, s1
	s_cbranch_execz .LBB4_52
; %bb.37:                               ;   in Loop: Header=BB4_36 Depth=1
	v_add_nc_u64_e32 v[4:5], 1, v[14:15]
	v_add_nc_u64_e32 v[112:113], 8, v[64:65]
	s_mov_b32 s18, exec_lo
	s_delay_alu instid0(VALU_DEP_1)
	v_cmpx_lt_u64_e64 v[112:113], v[4:5]
	s_cbranch_execz .LBB4_49
; %bb.38:                               ;   in Loop: Header=BB4_36 Depth=1
	s_mov_b32 s19, 0
	s_mov_b32 s23, 0
	v_cmp_eq_u32_e32 vcc_lo, 0, v59
                                        ; implicit-def: $sgpr20
                                        ; implicit-def: $sgpr21
                                        ; implicit-def: $sgpr22
	s_branch .LBB4_41
.LBB4_39:                               ;   in Loop: Header=BB4_41 Depth=2
	s_or_b32 exec_lo, exec_lo, s28
	v_mov_b32_e32 v15, 0
	s_and_not1_b32 s7, s22, exec_lo
	s_and_b32 s22, s26, exec_lo
	s_and_not1_b32 s21, s21, exec_lo
	s_and_b32 s25, s25, exec_lo
	s_or_b32 s22, s7, s22
	s_or_b32 s21, s21, s25
.LBB4_40:                               ;   in Loop: Header=BB4_41 Depth=2
	s_or_b32 exec_lo, exec_lo, s24
	s_delay_alu instid0(SALU_CYCLE_1) | instskip(NEXT) | instid1(SALU_CYCLE_1)
	s_and_b32 s7, exec_lo, s21
	s_or_b32 s19, s7, s19
	s_and_not1_b32 s7, s20, exec_lo
	s_and_b32 s20, s22, exec_lo
	s_delay_alu instid0(SALU_CYCLE_1)
	s_or_b32 s20, s7, s20
	s_and_not1_b32 exec_lo, exec_lo, s19
	s_cbranch_execz .LBB4_46
.LBB4_41:                               ;   Parent Loop BB4_36 Depth=1
                                        ; =>  This Inner Loop Header: Depth=2
	s_sleep 1
	s_wait_loadcnt_dscnt 0x0
	flat_load_b64 v[64:65], v[50:51] scope:SCOPE_DEV
	v_mov_b32_e32 v15, v59
	s_or_b32 s22, s22, exec_lo
	s_or_b32 s21, s21, exec_lo
                                        ; implicit-def: $vgpr3
	s_wait_xcnt 0x0
	s_and_saveexec_b32 s24, vcc_lo
	s_cbranch_execz .LBB4_40
; %bb.42:                               ;   in Loop: Header=BB4_41 Depth=2
	s_add_co_i32 s23, s23, 1
	s_mov_b32 s25, -1
	s_cmp_lg_u32 s23, 0x2710
	s_mov_b32 s26, -1
	s_cselect_b32 s27, -1, 0
	s_cmp_eq_u32 s23, 0x2710
                                        ; implicit-def: $vgpr3
	s_cbranch_scc1 .LBB4_44
; %bb.43:                               ;   in Loop: Header=BB4_41 Depth=2
	s_and_saveexec_b32 s28, s27
	s_cbranch_execz .LBB4_39
	s_branch .LBB4_45
.LBB4_44:                               ;   in Loop: Header=BB4_41 Depth=2
	s_trap 2
	ds_load_b64 v[112:113], v0
	s_and_not1_b32 s23, s27, exec_lo
	s_mov_b32 s26, 0
	s_wait_storecnt 0x0
	s_wait_loadcnt_dscnt 0x0
	flat_load_b32 v3, v[112:113] scope:SCOPE_SYS
	s_wait_loadcnt_dscnt 0x0
	global_inv scope:SCOPE_SYS
	v_cmp_eq_u32_e64 s7, 0, v3
	s_and_b32 s7, s7, exec_lo
	s_delay_alu instid0(SALU_CYCLE_1)
	s_or_b32 s27, s23, s7
	s_mov_b32 s23, 0
	s_and_saveexec_b32 s28, s27
	s_cbranch_execz .LBB4_39
.LBB4_45:                               ;   in Loop: Header=BB4_41 Depth=2
	s_wait_loadcnt_dscnt 0x0
	v_add_nc_u64_e32 v[112:113], 8, v[64:65]
	s_or_b32 s26, s26, exec_lo
	s_delay_alu instid0(VALU_DEP_1)
	v_cmp_ge_u64_e64 s7, v[112:113], v[4:5]
	s_or_not1_b32 s25, s7, exec_lo
	s_branch .LBB4_39
.LBB4_46:                               ;   in Loop: Header=BB4_36 Depth=1
	s_or_b32 exec_lo, exec_lo, s19
	s_xor_b32 s7, s20, -1
	s_delay_alu instid0(SALU_CYCLE_1) | instskip(NEXT) | instid1(SALU_CYCLE_1)
	s_and_saveexec_b32 s19, s7
	s_xor_b32 s7, exec_lo, s19
	s_cbranch_execz .LBB4_48
; %bb.47:                               ;   in Loop: Header=BB4_36 Depth=1
	v_mov_b32_e32 v15, 1
	s_wait_storecnt 0x0
	s_wait_loadcnt_dscnt 0x0
	ds_store_b32 v0, v3
	s_trap 2
.LBB4_48:                               ;   in Loop: Header=BB4_36 Depth=1
	s_or_b32 exec_lo, exec_lo, s7
	v_mov_b32_e32 v59, v15
.LBB4_49:                               ;   in Loop: Header=BB4_36 Depth=1
	s_or_b32 exec_lo, exec_lo, s18
	s_and_saveexec_b32 s7, s2
	s_cbranch_execz .LBB4_51
; %bb.50:                               ;   in Loop: Header=BB4_36 Depth=1
	v_and_b32_e32 v54, 0x7ffffff8, v14
	s_delay_alu instid0(VALU_DEP_1) | instskip(SKIP_1) | instid1(VALU_DEP_1)
	v_cmp_eq_u64_e32 vcc_lo, 0x7ffffff8, v[54:55]
	v_cndmask_b32_e64 v112, v30, s11, vcc_lo
	v_dual_ashrrev_i32 v113, 31, v112 :: v_dual_bitop2_b32 v3, 7, v14 bitop3:0x40
	s_delay_alu instid0(VALU_DEP_1)
	v_mad_nc_u64_u32 v[14:15], v3, 24, v[12:13]
	flat_store_b64 v[14:15], v[112:113] offset:8 scope:SCOPE_SYS
	s_wait_storecnt 0x0
.LBB4_51:                               ;   in Loop: Header=BB4_36 Depth=1
	s_wait_xcnt 0x0
	s_or_b32 exec_lo, exec_lo, s7
	v_mov_b64_e32 v[14:15], v[4:5]
.LBB4_52:                               ;   in Loop: Header=BB4_36 Depth=1
	s_or_b32 exec_lo, exec_lo, s8
	s_and_saveexec_b32 s7, s3
	s_cbranch_execz .LBB4_71
; %bb.53:                               ;   in Loop: Header=BB4_36 Depth=1
	s_and_saveexec_b32 s8, s4
	s_delay_alu instid0(SALU_CYCLE_1)
	s_xor_b32 s8, exec_lo, s8
	s_cbranch_execz .LBB4_68
; %bb.54:                               ;   in Loop: Header=BB4_36 Depth=1
	s_and_saveexec_b32 s18, s5
	s_cbranch_execz .LBB4_67
; %bb.55:                               ;   in Loop: Header=BB4_36 Depth=1
	s_mov_b32 s20, exec_lo
	s_mov_b32 s19, exec_lo
	v_mbcnt_lo_u32_b32 v3, s20, 0
	global_wb scope:SCOPE_DEV
	s_wait_storecnt 0x0
	s_wait_loadcnt_dscnt 0x0
	global_inv scope:SCOPE_DEV
	v_cmpx_eq_u32_e32 0, v3
	s_cbranch_execz .LBB4_57
; %bb.56:                               ;   in Loop: Header=BB4_36 Depth=1
	s_bcnt1_i32_b32 s20, s20
	s_delay_alu instid0(SALU_CYCLE_1)
	v_mov_b32_e32 v54, s20
	s_wait_loadcnt 0x0
	ds_add_u64 v0, v[54:55]
	s_trap 2
.LBB4_57:                               ;   in Loop: Header=BB4_36 Depth=1
	s_or_b32 exec_lo, exec_lo, s19
	s_trap 2
	ds_load_b64 v[4:5], v0
	s_wait_dscnt 0x0
	v_add_nc_u64_e32 v[52:53], v[52:53], v[84:85]
	s_mov_b32 s19, exec_lo
	s_delay_alu instid0(VALU_DEP_1)
	v_cmpx_lt_u64_e64 v[4:5], v[52:53]
	s_cbranch_execz .LBB4_66
; %bb.58:                               ;   in Loop: Header=BB4_36 Depth=1
	s_mov_b32 s20, 0
	s_mov_b32 s23, 0
                                        ; implicit-def: $sgpr21
                                        ; implicit-def: $sgpr22
	s_branch .LBB4_60
.LBB4_59:                               ;   in Loop: Header=BB4_60 Depth=2
	s_or_b32 exec_lo, exec_lo, s25
	s_delay_alu instid0(SALU_CYCLE_1) | instskip(NEXT) | instid1(SALU_CYCLE_1)
	s_and_b32 s24, exec_lo, s26
	s_or_b32 s20, s24, s20
	s_and_not1_b32 s21, s21, exec_lo
	s_and_b32 s24, s22, exec_lo
	s_delay_alu instid0(SALU_CYCLE_1)
	s_or_b32 s21, s21, s24
	s_and_not1_b32 exec_lo, exec_lo, s20
	s_cbranch_execz .LBB4_64
.LBB4_60:                               ;   Parent Loop BB4_36 Depth=1
                                        ; =>  This Inner Loop Header: Depth=2
	s_add_co_i32 s23, s23, 1
	s_delay_alu instid0(SALU_CYCLE_1) | instskip(SKIP_1) | instid1(SALU_CYCLE_1)
	s_cmp_lg_u32 s23, 0x2710
	s_cselect_b32 s24, -1, 0
	s_and_b32 vcc_lo, exec_lo, s24
	s_cbranch_vccz .LBB4_62
; %bb.61:                               ;   in Loop: Header=BB4_60 Depth=2
	s_mov_b32 s26, -1
	s_or_b32 s22, s22, exec_lo
	s_and_saveexec_b32 s25, s24
	s_cbranch_execz .LBB4_59
	s_branch .LBB4_63
.LBB4_62:                               ;   in Loop: Header=BB4_60 Depth=2
	s_trap 2
	ds_load_b64 v[4:5], v0
	s_and_not1_b32 s24, s24, exec_lo
	s_mov_b32 s23, 0
	s_wait_loadcnt_dscnt 0x0
	flat_load_b32 v3, v[4:5] scope:SCOPE_SYS
	s_wait_loadcnt_dscnt 0x0
	global_inv scope:SCOPE_SYS
	v_cmp_eq_u32_e32 vcc_lo, 0, v3
	s_and_b32 s25, vcc_lo, exec_lo
	s_delay_alu instid0(SALU_CYCLE_1)
	s_or_b32 s24, s24, s25
	s_mov_b32 s26, -1
	s_or_b32 s22, s22, exec_lo
	s_and_saveexec_b32 s25, s24
	s_cbranch_execz .LBB4_59
.LBB4_63:                               ;   in Loop: Header=BB4_60 Depth=2
	s_sleep 1
	s_trap 2
	ds_load_b64 v[4:5], v0
	s_wait_dscnt 0x0
	s_and_not1_b32 s22, s22, exec_lo
	v_cmp_ge_u64_e32 vcc_lo, v[4:5], v[52:53]
	s_or_not1_b32 s26, vcc_lo, exec_lo
	s_branch .LBB4_59
.LBB4_64:                               ;   in Loop: Header=BB4_36 Depth=1
	s_or_b32 exec_lo, exec_lo, s20
	s_and_saveexec_b32 s20, s21
	s_delay_alu instid0(SALU_CYCLE_1)
	s_xor_b32 s20, exec_lo, s20
	s_cbranch_execz .LBB4_66
; %bb.65:                               ;   in Loop: Header=BB4_36 Depth=1
	ds_store_b32 v0, v1
	s_trap 2
.LBB4_66:                               ;   in Loop: Header=BB4_36 Depth=1
	s_or_b32 exec_lo, exec_lo, s19
	;;#ASMSTART
	s_wakeup
	;;#ASMEND
.LBB4_67:                               ;   in Loop: Header=BB4_36 Depth=1
	s_or_b32 exec_lo, exec_lo, s18
.LBB4_68:                               ;   in Loop: Header=BB4_36 Depth=1
	s_and_not1_saveexec_b32 s8, s8
	s_cbranch_execz .LBB4_70
; %bb.69:                               ;   in Loop: Header=BB4_36 Depth=1
	global_wb scope:SCOPE_DEV
	s_wait_storecnt 0x0
	s_wait_loadcnt_dscnt 0x0
	global_inv scope:SCOPE_DEV
	s_barrier_signal -1
	s_barrier_wait -1
.LBB4_70:                               ;   in Loop: Header=BB4_36 Depth=1
	s_or_b32 exec_lo, exec_lo, s8
.LBB4_71:                               ;   in Loop: Header=BB4_36 Depth=1
	s_delay_alu instid0(SALU_CYCLE_1) | instskip(SKIP_2) | instid1(VALU_DEP_2)
	s_or_b32 exec_lo, exec_lo, s7
	v_dual_sub_nc_u32 v60, v2, v82 :: v_dual_bitop2_b32 v116, 7, v16 bitop3:0x40
	v_dual_mov_b32 v18, v0 :: v_dual_add_nc_u32 v3, 1, v16
	v_cmp_lt_i32_e64 s7, 0, v60
	s_and_saveexec_b32 s8, s7
	s_cbranch_execz .LBB4_79
; %bb.72:                               ;   in Loop: Header=BB4_36 Depth=1
	s_wait_loadcnt_dscnt 0x0
	v_mad_nc_u64_u32 v[112:113], v68, v19, v[98:99]
	v_mul_lo_u32 v4, v116, s15
	v_mul_lo_u32 v18, v68, v19
	v_mov_b32_e32 v117, v60
	s_mov_b32 s18, 0
	s_delay_alu instid0(VALU_DEP_4) | instskip(NEXT) | instid1(VALU_DEP_4)
	v_mad_u32 v2, v69, v19, v113
	v_dual_ashrrev_i32 v19, 31, v19 :: v_dual_ashrrev_i32 v5, 31, v4
	s_delay_alu instid0(VALU_DEP_1) | instskip(NEXT) | instid1(VALU_DEP_2)
	v_lshl_add_u64 v[114:115], v[4:5], 4, v[100:101]
	v_mad_u32 v113, v68, v19, v2
	v_add_lshl_u32 v19, v98, v18, 3
	v_mov_b32_e32 v18, v0
	s_branch .LBB4_74
.LBB4_73:                               ;   in Loop: Header=BB4_74 Depth=2
	s_wait_xcnt 0x0
	s_or_b32 exec_lo, exec_lo, s19
	s_wait_loadcnt 0x0
	v_alignbit_b32 v2, v119, v2, v19
	v_alignbit_b32 v4, v118, v119, v19
	v_dual_mov_b32 v5, v3 :: v_dual_sub_nc_u32 v117, v117, v86
	v_add_nc_u64_e32 v[112:113], v[112:113], v[86:87]
	v_dual_add_nc_u32 v18, v18, v20 :: v_dual_add_nc_u32 v19, v19, v57
	global_store_b128 v[114:115], v[2:5], off
	v_cmp_gt_i32_e32 vcc_lo, 1, v117
	s_wait_xcnt 0x0
	v_add_nc_u64_e32 v[114:115], v[114:115], v[102:103]
	s_or_b32 s18, vcc_lo, s18
	s_delay_alu instid0(SALU_CYCLE_1)
	s_and_not1_b32 exec_lo, exec_lo, s18
	s_cbranch_execz .LBB4_78
.LBB4_74:                               ;   Parent Loop BB4_36 Depth=1
                                        ; =>  This Inner Loop Header: Depth=2
	s_delay_alu instid0(VALU_DEP_3)
	v_dual_mov_b32 v5, v113 :: v_dual_bitop2_b32 v4, -4, v112 bitop3:0x40
	v_min_u32_e32 v54, 8, v117
	v_dual_mov_b32 v119, 0 :: v_dual_bitop2_b32 v118, 3, v112 bitop3:0x40
	s_mov_b32 s19, exec_lo
	global_load_b32 v2, v[4:5], off th:TH_LOAD_NT
	v_dual_add_nc_u32 v54, v118, v54 :: v_dual_mov_b32 v118, 0
	s_wait_xcnt 0x0
	s_delay_alu instid0(VALU_DEP_1)
	v_cmpx_lt_u32_e32 4, v54
	s_cbranch_execz .LBB4_76
; %bb.75:                               ;   in Loop: Header=BB4_74 Depth=2
	global_load_b32 v119, v[4:5], off offset:4 th:TH_LOAD_NT
.LBB4_76:                               ;   in Loop: Header=BB4_74 Depth=2
	s_wait_xcnt 0x0
	s_or_b32 exec_lo, exec_lo, s19
	s_delay_alu instid0(SALU_CYCLE_1)
	s_mov_b32 s19, exec_lo
	v_cmpx_lt_u64_e32 8, v[54:55]
	s_cbranch_execz .LBB4_73
; %bb.77:                               ;   in Loop: Header=BB4_74 Depth=2
	global_load_b32 v118, v[4:5], off offset:8 th:TH_LOAD_NT
	s_branch .LBB4_73
.LBB4_78:                               ;   in Loop: Header=BB4_36 Depth=1
	s_or_b32 exec_lo, exec_lo, s18
.LBB4_79:                               ;   in Loop: Header=BB4_36 Depth=1
	s_delay_alu instid0(SALU_CYCLE_1) | instskip(SKIP_2) | instid1(VALU_DEP_2)
	s_or_b32 exec_lo, exec_lo, s8
	v_and_b32_e32 v54, 0x7ffffff8, v16
	v_cmp_gt_i32_e64 s8, s15, v18
	v_cmp_eq_u64_e32 vcc_lo, 0x7ffffff8, v[54:55]
	s_and_b32 s18, vcc_lo, s8
	s_delay_alu instid0(SALU_CYCLE_1)
	s_and_saveexec_b32 s8, s18
	s_cbranch_execz .LBB4_82
; %bb.80:                               ;   in Loop: Header=BB4_36 Depth=1
	v_mul_lo_u32 v4, v116, s15
	v_mov_b32_e32 v2, v55
	s_mov_b32 s18, 0
	s_wait_loadcnt_dscnt 0x0
	s_delay_alu instid0(VALU_DEP_2) | instskip(NEXT) | instid1(VALU_DEP_1)
	v_dual_ashrrev_i32 v19, 31, v18 :: v_dual_ashrrev_i32 v5, 31, v4
	v_lshlrev_b64_e32 v[4:5], 4, v[4:5]
	s_delay_alu instid0(VALU_DEP_1) | instskip(NEXT) | instid1(VALU_DEP_1)
	v_lshl_add_u64 v[4:5], v[18:19], 4, v[4:5]
	v_add_nc_u64_e32 v[112:113], v[36:37], v[4:5]
.LBB4_81:                               ;   Parent Loop BB4_36 Depth=1
                                        ; =>  This Inner Loop Header: Depth=2
	v_dual_mov_b32 v4, v2 :: v_dual_mov_b32 v5, v3
	v_add_nc_u32_e32 v18, v18, v20
	global_store_b128 v[112:113], v[2:5], off
	v_cmp_le_i32_e32 vcc_lo, s15, v18
	s_wait_xcnt 0x0
	v_add_nc_u64_e32 v[112:113], v[112:113], v[102:103]
	s_or_b32 s18, vcc_lo, s18
	s_delay_alu instid0(SALU_CYCLE_1)
	s_and_not1_b32 exec_lo, exec_lo, s18
	s_cbranch_execnz .LBB4_81
.LBB4_82:                               ;   in Loop: Header=BB4_36 Depth=1
	s_or_b32 exec_lo, exec_lo, s8
	v_add_nc_u64_e32 v[112:113], v[80:81], v[24:25]
	v_add_nc_u64_e32 v[114:115], 1, v[16:17]
	s_and_not1_b32 vcc_lo, exec_lo, s17
	s_cbranch_vccnz .LBB4_484
; %bb.83:                               ;   in Loop: Header=BB4_36 Depth=1
	s_delay_alu instid0(VALU_DEP_2)
	v_add_nc_u64_e32 v[116:117], v[96:97], v[112:113]
	v_add_nc_u16 v61, v16, 1
	s_mov_b32 s18, 2
	s_branch .LBB4_85
.LBB4_84:                               ;   in Loop: Header=BB4_85 Depth=2
	s_or_b32 exec_lo, exec_lo, s8
	v_add_nc_u64_e32 v[34:35], 1, v[34:35]
	v_add_nc_u64_e32 v[114:115], 1, v[114:115]
	v_add_nc_u16 v61, v61, 1
	s_add_co_i32 s18, s18, 1
	s_delay_alu instid0(SALU_CYCLE_1)
	s_cmp_eq_u32 s18, s10
	s_cbranch_scc1 .LBB4_484
.LBB4_85:                               ;   Parent Loop BB4_36 Depth=1
                                        ; =>  This Loop Header: Depth=2
                                        ;       Child Loop BB4_90 Depth 3
                                        ;       Child Loop BB4_109 Depth 3
	;; [unrolled: 1-line block ×3, first 2 shown]
                                        ;         Child Loop BB4_138 Depth 4
                                        ;       Child Loop BB4_473 Depth 3
                                        ;       Child Loop BB4_126 Depth 3
	s_sub_co_i32 s8, s10, s18
	v_readfirstlane_b32 s20, v22
	v_mov_b32_e32 v2, s8
	v_readfirstlane_b32 s21, v23
	s_wait_loadcnt_dscnt 0x0
	flat_load_b32 v4, v2, s[20:21] scale_offset
	s_wait_xcnt 0x0
	s_and_saveexec_b32 s19, s1
	s_cbranch_execz .LBB4_101
; %bb.86:                               ;   in Loop: Header=BB4_85 Depth=2
	v_add_nc_u64_e32 v[2:3], 1, v[14:15]
	s_wait_loadcnt_dscnt 0x101
	v_add_nc_u64_e32 v[16:17], 8, v[64:65]
	s_mov_b32 s20, exec_lo
	s_delay_alu instid0(VALU_DEP_1)
	v_cmpx_lt_u64_e64 v[16:17], v[2:3]
	s_cbranch_execz .LBB4_98
; %bb.87:                               ;   in Loop: Header=BB4_85 Depth=2
	s_mov_b32 s21, 0
	s_mov_b32 s25, 0
	v_cmp_eq_u32_e32 vcc_lo, 0, v59
                                        ; implicit-def: $sgpr22
                                        ; implicit-def: $sgpr23
                                        ; implicit-def: $sgpr24
	s_branch .LBB4_90
.LBB4_88:                               ;   in Loop: Header=BB4_90 Depth=3
	s_or_b32 exec_lo, exec_lo, s40
	v_mov_b32_e32 v15, 0
	s_and_not1_b32 s8, s24, exec_lo
	s_and_b32 s24, s28, exec_lo
	s_and_not1_b32 s23, s23, exec_lo
	s_and_b32 s27, s27, exec_lo
	s_or_b32 s24, s8, s24
	s_or_b32 s23, s23, s27
.LBB4_89:                               ;   in Loop: Header=BB4_90 Depth=3
	s_or_b32 exec_lo, exec_lo, s26
	s_delay_alu instid0(SALU_CYCLE_1) | instskip(NEXT) | instid1(SALU_CYCLE_1)
	s_and_b32 s8, exec_lo, s23
	s_or_b32 s21, s8, s21
	s_and_not1_b32 s8, s22, exec_lo
	s_and_b32 s22, s24, exec_lo
	s_delay_alu instid0(SALU_CYCLE_1)
	s_or_b32 s22, s8, s22
	s_and_not1_b32 exec_lo, exec_lo, s21
	s_cbranch_execz .LBB4_95
.LBB4_90:                               ;   Parent Loop BB4_36 Depth=1
                                        ;     Parent Loop BB4_85 Depth=2
                                        ; =>    This Inner Loop Header: Depth=3
	s_sleep 1
	s_wait_loadcnt_dscnt 0x0
	flat_load_b64 v[64:65], v[50:51] scope:SCOPE_DEV
	v_mov_b32_e32 v15, v59
	s_or_b32 s24, s24, exec_lo
	s_or_b32 s23, s23, exec_lo
                                        ; implicit-def: $vgpr5
	s_wait_xcnt 0x0
	s_and_saveexec_b32 s26, vcc_lo
	s_cbranch_execz .LBB4_89
; %bb.91:                               ;   in Loop: Header=BB4_90 Depth=3
	s_add_co_i32 s25, s25, 1
	s_mov_b32 s27, -1
	s_cmp_lg_u32 s25, 0x2710
	s_mov_b32 s28, -1
	s_cselect_b32 s29, -1, 0
	s_cmp_eq_u32 s25, 0x2710
                                        ; implicit-def: $vgpr5
	s_cbranch_scc1 .LBB4_93
; %bb.92:                               ;   in Loop: Header=BB4_90 Depth=3
	s_and_saveexec_b32 s40, s29
	s_cbranch_execz .LBB4_88
	s_branch .LBB4_94
.LBB4_93:                               ;   in Loop: Header=BB4_90 Depth=3
	s_trap 2
	ds_load_b64 v[16:17], v0
	s_and_not1_b32 s25, s29, exec_lo
	s_mov_b32 s28, 0
	s_wait_storecnt 0x0
	s_wait_loadcnt_dscnt 0x0
	flat_load_b32 v5, v[16:17] scope:SCOPE_SYS
	s_wait_loadcnt_dscnt 0x0
	global_inv scope:SCOPE_SYS
	v_cmp_eq_u32_e64 s8, 0, v5
	s_and_b32 s8, s8, exec_lo
	s_delay_alu instid0(SALU_CYCLE_1)
	s_or_b32 s29, s25, s8
	s_mov_b32 s25, 0
	s_and_saveexec_b32 s40, s29
	s_cbranch_execz .LBB4_88
.LBB4_94:                               ;   in Loop: Header=BB4_90 Depth=3
	s_wait_loadcnt_dscnt 0x0
	v_add_nc_u64_e32 v[16:17], 8, v[64:65]
	s_or_b32 s28, s28, exec_lo
	s_delay_alu instid0(VALU_DEP_1)
	v_cmp_ge_u64_e64 s8, v[16:17], v[2:3]
	s_or_not1_b32 s27, s8, exec_lo
	s_branch .LBB4_88
.LBB4_95:                               ;   in Loop: Header=BB4_85 Depth=2
	s_or_b32 exec_lo, exec_lo, s21
	s_xor_b32 s8, s22, -1
	s_delay_alu instid0(SALU_CYCLE_1) | instskip(NEXT) | instid1(SALU_CYCLE_1)
	s_and_saveexec_b32 s21, s8
	s_xor_b32 s8, exec_lo, s21
	s_cbranch_execz .LBB4_97
; %bb.96:                               ;   in Loop: Header=BB4_85 Depth=2
	v_mov_b32_e32 v15, 1
	s_wait_storecnt 0x0
	s_wait_loadcnt_dscnt 0x0
	ds_store_b32 v0, v5
	s_trap 2
.LBB4_97:                               ;   in Loop: Header=BB4_85 Depth=2
	s_or_b32 exec_lo, exec_lo, s8
	v_mov_b32_e32 v59, v15
.LBB4_98:                               ;   in Loop: Header=BB4_85 Depth=2
	s_or_b32 exec_lo, exec_lo, s20
	s_and_saveexec_b32 s8, s2
	s_cbranch_execz .LBB4_100
; %bb.99:                               ;   in Loop: Header=BB4_85 Depth=2
	v_and_b32_e32 v54, 0x7ffffff8, v14
	s_delay_alu instid0(VALU_DEP_1) | instskip(SKIP_1) | instid1(VALU_DEP_1)
	v_cmp_eq_u64_e32 vcc_lo, 0x7ffffff8, v[54:55]
	v_cndmask_b32_e64 v16, v30, s11, vcc_lo
	v_dual_ashrrev_i32 v17, 31, v16 :: v_dual_bitop2_b32 v5, 7, v14 bitop3:0x40
	s_delay_alu instid0(VALU_DEP_1)
	v_mad_nc_u64_u32 v[14:15], v5, 24, v[12:13]
	flat_store_b64 v[14:15], v[16:17] offset:8 scope:SCOPE_SYS
	s_wait_storecnt 0x0
.LBB4_100:                              ;   in Loop: Header=BB4_85 Depth=2
	s_wait_xcnt 0x0
	s_or_b32 exec_lo, exec_lo, s8
	v_mov_b64_e32 v[14:15], v[2:3]
.LBB4_101:                              ;   in Loop: Header=BB4_85 Depth=2
	s_or_b32 exec_lo, exec_lo, s19
	s_and_saveexec_b32 s8, s3
	s_cbranch_execz .LBB4_120
; %bb.102:                              ;   in Loop: Header=BB4_85 Depth=2
	s_and_saveexec_b32 s19, s4
	s_delay_alu instid0(SALU_CYCLE_1)
	s_xor_b32 s19, exec_lo, s19
	s_cbranch_execz .LBB4_117
; %bb.103:                              ;   in Loop: Header=BB4_85 Depth=2
	s_and_saveexec_b32 s20, s5
	s_cbranch_execz .LBB4_116
; %bb.104:                              ;   in Loop: Header=BB4_85 Depth=2
	s_mov_b32 s22, exec_lo
	s_mov_b32 s21, exec_lo
	v_mbcnt_lo_u32_b32 v2, s22, 0
	global_wb scope:SCOPE_DEV
	s_wait_storecnt 0x0
	s_wait_loadcnt_dscnt 0x0
	global_inv scope:SCOPE_DEV
	v_cmpx_eq_u32_e32 0, v2
	s_cbranch_execz .LBB4_106
; %bb.105:                              ;   in Loop: Header=BB4_85 Depth=2
	s_bcnt1_i32_b32 s22, s22
	s_delay_alu instid0(SALU_CYCLE_1)
	v_mov_b32_e32 v54, s22
	s_wait_loadcnt 0x0
	ds_add_u64 v0, v[54:55]
	s_trap 2
.LBB4_106:                              ;   in Loop: Header=BB4_85 Depth=2
	s_or_b32 exec_lo, exec_lo, s21
	s_trap 2
	ds_load_b64 v[2:3], v0
	s_wait_dscnt 0x0
	v_add_nc_u64_e32 v[52:53], v[52:53], v[84:85]
	s_mov_b32 s21, exec_lo
	s_delay_alu instid0(VALU_DEP_1)
	v_cmpx_lt_u64_e64 v[2:3], v[52:53]
	s_cbranch_execz .LBB4_115
; %bb.107:                              ;   in Loop: Header=BB4_85 Depth=2
	s_mov_b32 s22, 0
	s_mov_b32 s25, 0
                                        ; implicit-def: $sgpr23
                                        ; implicit-def: $sgpr24
	s_branch .LBB4_109
.LBB4_108:                              ;   in Loop: Header=BB4_109 Depth=3
	s_or_b32 exec_lo, exec_lo, s27
	s_delay_alu instid0(SALU_CYCLE_1) | instskip(NEXT) | instid1(SALU_CYCLE_1)
	s_and_b32 s26, exec_lo, s28
	s_or_b32 s22, s26, s22
	s_and_not1_b32 s23, s23, exec_lo
	s_and_b32 s26, s24, exec_lo
	s_delay_alu instid0(SALU_CYCLE_1)
	s_or_b32 s23, s23, s26
	s_and_not1_b32 exec_lo, exec_lo, s22
	s_cbranch_execz .LBB4_113
.LBB4_109:                              ;   Parent Loop BB4_36 Depth=1
                                        ;     Parent Loop BB4_85 Depth=2
                                        ; =>    This Inner Loop Header: Depth=3
	s_add_co_i32 s25, s25, 1
	s_delay_alu instid0(SALU_CYCLE_1) | instskip(SKIP_1) | instid1(SALU_CYCLE_1)
	s_cmp_lg_u32 s25, 0x2710
	s_cselect_b32 s26, -1, 0
	s_and_b32 vcc_lo, exec_lo, s26
	s_cbranch_vccz .LBB4_111
; %bb.110:                              ;   in Loop: Header=BB4_109 Depth=3
	s_mov_b32 s28, -1
	s_or_b32 s24, s24, exec_lo
	s_and_saveexec_b32 s27, s26
	s_cbranch_execz .LBB4_108
	s_branch .LBB4_112
.LBB4_111:                              ;   in Loop: Header=BB4_109 Depth=3
	s_trap 2
	ds_load_b64 v[2:3], v0
	s_and_not1_b32 s26, s26, exec_lo
	s_mov_b32 s25, 0
	s_wait_loadcnt_dscnt 0x0
	flat_load_b32 v2, v[2:3] scope:SCOPE_SYS
	s_wait_loadcnt_dscnt 0x0
	global_inv scope:SCOPE_SYS
	v_cmp_eq_u32_e32 vcc_lo, 0, v2
	s_and_b32 s27, vcc_lo, exec_lo
	s_delay_alu instid0(SALU_CYCLE_1)
	s_or_b32 s26, s26, s27
	s_mov_b32 s28, -1
	s_or_b32 s24, s24, exec_lo
	s_and_saveexec_b32 s27, s26
	s_cbranch_execz .LBB4_108
.LBB4_112:                              ;   in Loop: Header=BB4_109 Depth=3
	s_sleep 1
	s_trap 2
	ds_load_b64 v[2:3], v0
	s_wait_dscnt 0x0
	s_and_not1_b32 s24, s24, exec_lo
	v_cmp_ge_u64_e32 vcc_lo, v[2:3], v[52:53]
	s_or_not1_b32 s28, vcc_lo, exec_lo
	s_branch .LBB4_108
.LBB4_113:                              ;   in Loop: Header=BB4_85 Depth=2
	s_or_b32 exec_lo, exec_lo, s22
	s_and_saveexec_b32 s22, s23
	s_delay_alu instid0(SALU_CYCLE_1)
	s_xor_b32 s22, exec_lo, s22
	s_cbranch_execz .LBB4_115
; %bb.114:                              ;   in Loop: Header=BB4_85 Depth=2
	ds_store_b32 v0, v1
	s_trap 2
.LBB4_115:                              ;   in Loop: Header=BB4_85 Depth=2
	s_or_b32 exec_lo, exec_lo, s21
	;;#ASMSTART
	s_wakeup
	;;#ASMEND
.LBB4_116:                              ;   in Loop: Header=BB4_85 Depth=2
	s_or_b32 exec_lo, exec_lo, s20
.LBB4_117:                              ;   in Loop: Header=BB4_85 Depth=2
	s_and_not1_saveexec_b32 s19, s19
	s_cbranch_execz .LBB4_119
; %bb.118:                              ;   in Loop: Header=BB4_85 Depth=2
	global_wb scope:SCOPE_DEV
	s_wait_storecnt 0x0
	s_wait_loadcnt_dscnt 0x0
	global_inv scope:SCOPE_DEV
	s_barrier_signal -1
	s_barrier_wait -1
.LBB4_119:                              ;   in Loop: Header=BB4_85 Depth=2
	s_or_b32 exec_lo, exec_lo, s19
.LBB4_120:                              ;   in Loop: Header=BB4_85 Depth=2
	s_delay_alu instid0(SALU_CYCLE_1)
	s_or_b32 exec_lo, exec_lo, s8
	v_dual_mov_b32 v118, v0 :: v_dual_add_nc_u32 v3, 1, v114
	s_and_saveexec_b32 s19, s7
	s_cbranch_execnz .LBB4_127
; %bb.121:                              ;   in Loop: Header=BB4_85 Depth=2
	s_or_b32 exec_lo, exec_lo, s19
	s_and_saveexec_b32 s8, s3
	s_cbranch_execnz .LBB4_466
.LBB4_122:                              ;   in Loop: Header=BB4_85 Depth=2
	s_or_b32 exec_lo, exec_lo, s8
	s_and_saveexec_b32 s8, s6
	s_cbranch_execz .LBB4_124
.LBB4_123:                              ;   in Loop: Header=BB4_85 Depth=2
	v_add_nc_u64_e32 v[38:39], 1, v[38:39]
	global_wb scope:SCOPE_SYS
	s_wait_storecnt 0x0
	s_wait_loadcnt_dscnt 0x0
	flat_store_b64 v[48:49], v[38:39] scope:SCOPE_SYS
.LBB4_124:                              ;   in Loop: Header=BB4_85 Depth=2
	s_wait_xcnt 0x0
	s_or_b32 exec_lo, exec_lo, s8
	v_and_b32_e32 v54, 0x7ffffff8, v114
	v_cmp_gt_i32_e64 s8, s15, v118
	s_delay_alu instid0(VALU_DEP_2) | instskip(SKIP_1) | instid1(SALU_CYCLE_1)
	v_cmp_eq_u64_e32 vcc_lo, 0x7ffffff8, v[54:55]
	s_and_b32 s19, vcc_lo, s8
	s_and_saveexec_b32 s8, s19
	s_cbranch_execz .LBB4_84
; %bb.125:                              ;   in Loop: Header=BB4_85 Depth=2
	v_dual_ashrrev_i32 v119, 31, v118 :: v_dual_bitop2_b32 v2, 7, v61 bitop3:0x40
	s_mov_b32 s19, 0
	s_wait_loadcnt_dscnt 0x0
	s_delay_alu instid0(VALU_DEP_1) | instskip(NEXT) | instid1(VALU_DEP_1)
	v_mul_lo_u32 v4, s15, v2
	v_dual_mov_b32 v2, v55 :: v_dual_ashrrev_i32 v5, 31, v4
	s_delay_alu instid0(VALU_DEP_1) | instskip(NEXT) | instid1(VALU_DEP_1)
	v_lshlrev_b64_e32 v[4:5], 4, v[4:5]
	v_lshl_add_u64 v[4:5], v[118:119], 4, v[4:5]
	s_delay_alu instid0(VALU_DEP_1)
	v_add_nc_u64_e32 v[16:17], v[36:37], v[4:5]
.LBB4_126:                              ;   Parent Loop BB4_36 Depth=1
                                        ;     Parent Loop BB4_85 Depth=2
                                        ; =>    This Inner Loop Header: Depth=3
	s_delay_alu instid0(VALU_DEP_4)
	v_dual_mov_b32 v4, v2 :: v_dual_mov_b32 v5, v3
	v_add_nc_u32_e32 v118, v118, v20
	global_store_b128 v[16:17], v[2:5], off
	v_cmp_le_i32_e32 vcc_lo, s15, v118
	s_wait_xcnt 0x0
	v_add_nc_u64_e32 v[16:17], v[16:17], v[102:103]
	s_or_b32 s19, vcc_lo, s19
	s_delay_alu instid0(SALU_CYCLE_1)
	s_and_not1_b32 exec_lo, exec_lo, s19
	s_cbranch_execnz .LBB4_126
	s_branch .LBB4_84
.LBB4_127:                              ;   in Loop: Header=BB4_85 Depth=2
	v_and_b32_e32 v2, 7, v34
	s_wait_loadcnt_dscnt 0x0
	v_mad_nc_u64_u32 v[40:41], v68, v4, v[116:117]
	v_dual_add_nc_u32 v62, 1, v34 :: v_dual_mov_b32 v118, v0
	s_mov_b32 s20, 0
	v_mul_lo_u32 v16, v2, s15
	v_dual_mov_b32 v63, v60 :: v_dual_bitop2_b32 v5, 7, v114 bitop3:0x40
	s_delay_alu instid0(VALU_DEP_4) | instskip(SKIP_1) | instid1(VALU_DEP_4)
	v_mad_u32 v2, v69, v4, v41
	v_ashrrev_i32_e32 v4, 31, v4
	v_ashrrev_i32_e32 v17, 31, v16
	s_delay_alu instid0(VALU_DEP_4) | instskip(NEXT) | instid1(VALU_DEP_2)
	v_mul_lo_u32 v18, v5, s15
	v_lshl_add_u64 v[42:43], v[16:17], 4, v[32:33]
	s_delay_alu instid0(VALU_DEP_4) | instskip(NEXT) | instid1(VALU_DEP_3)
	v_mad_u32 v41, v68, v4, v2
	v_ashrrev_i32_e32 v19, 31, v18
	s_delay_alu instid0(VALU_DEP_1)
	v_lshl_add_u64 v[44:45], v[18:19], 4, v[36:37]
	s_branch .LBB4_130
.LBB4_128:                              ;   in Loop: Header=BB4_130 Depth=3
	s_or_b32 exec_lo, exec_lo, s21
.LBB4_129:                              ;   in Loop: Header=BB4_130 Depth=3
	s_delay_alu instid0(SALU_CYCLE_1) | instskip(SKIP_4) | instid1(VALU_DEP_4)
	s_or_b32 exec_lo, exec_lo, s8
	v_dual_lshlrev_b32 v2, 8, v73 :: v_dual_lshlrev_b32 v5, 16, v46
	v_dual_lshlrev_b32 v16, 8, v74 :: v_dual_lshlrev_b32 v17, 16, v75
	v_dual_sub_nc_u32 v63, v63, v86 :: v_dual_lshlrev_b32 v18, 24, v47
	v_lshlrev_b32_e32 v4, 24, v4
	v_or3_b32 v2, v2, v72, v5
	s_delay_alu instid0(VALU_DEP_4)
	v_or3_b32 v5, v16, v19, v17
	v_add_nc_u64_e32 v[40:41], v[40:41], v[86:87]
	v_lshl_add_u64 v[16:17], v[118:119], 4, v[44:45]
	v_add_nc_u32_e32 v118, v118, v20
	v_cmp_gt_i32_e32 vcc_lo, 1, v63
	v_or3_b32 v2, v2, v18, 0
	v_or3_b32 v4, v5, v4, 0
	v_mov_b32_e32 v5, v3
	s_or_b32 s20, vcc_lo, s20
	global_store_b128 v[16:17], v[2:5], off
	s_wait_xcnt 0x0
	s_and_not1_b32 exec_lo, exec_lo, s20
	s_cbranch_execz .LBB4_465
.LBB4_130:                              ;   Parent Loop BB4_36 Depth=1
                                        ;     Parent Loop BB4_85 Depth=2
                                        ; =>    This Loop Header: Depth=3
                                        ;         Child Loop BB4_138 Depth 4
	s_delay_alu instid0(VALU_DEP_3)
	v_dual_mov_b32 v5, v41 :: v_dual_bitop2_b32 v4, -4, v40 bitop3:0x40
	v_min_u32_e32 v16, 8, v63
	v_dual_mov_b32 v74, 0 :: v_dual_bitop2_b32 v17, 3, v40 bitop3:0x40
	v_mov_b32_e32 v75, 0
	global_load_b32 v2, v[4:5], off th:TH_LOAD_NT
	s_mov_b32 s8, exec_lo
	v_add_nc_u32_e32 v54, v17, v16
	s_wait_xcnt 0x0
	s_delay_alu instid0(VALU_DEP_1)
	v_cmpx_lt_u32_e32 4, v54
	s_cbranch_execz .LBB4_132
; %bb.131:                              ;   in Loop: Header=BB4_130 Depth=3
	global_load_b32 v75, v[4:5], off offset:4 th:TH_LOAD_NT
.LBB4_132:                              ;   in Loop: Header=BB4_130 Depth=3
	s_wait_xcnt 0x0
	s_or_b32 exec_lo, exec_lo, s8
	s_delay_alu instid0(SALU_CYCLE_1)
	s_mov_b32 s8, exec_lo
	v_cmpx_lt_u64_e32 8, v[54:55]
	s_cbranch_execz .LBB4_134
; %bb.133:                              ;   in Loop: Header=BB4_130 Depth=3
	global_load_b32 v74, v[4:5], off offset:8 th:TH_LOAD_NT
.LBB4_134:                              ;   in Loop: Header=BB4_130 Depth=3
	s_wait_xcnt 0x0
	s_or_b32 exec_lo, exec_lo, s8
	v_ashrrev_i32_e32 v119, 31, v118
	s_mov_b32 s21, exec_lo
	s_delay_alu instid0(VALU_DEP_1)
	v_lshl_add_u64 v[4:5], v[118:119], 4, v[42:43]
	global_load_b128 v[16:19], v[4:5], off th:TH_LOAD_NT
	s_wait_xcnt 0x0
	v_cmpx_eq_u32_e32 0, v59
	s_cbranch_execz .LBB4_146
; %bb.135:                              ;   in Loop: Header=BB4_130 Depth=3
	s_wait_loadcnt 0x0
	v_cmp_ne_u32_e32 vcc_lo, v62, v17
	v_cmp_ne_u32_e64 s8, v62, v19
	v_mov_b32_e32 v59, 0
	s_or_b32 s8, vcc_lo, s8
	s_delay_alu instid0(SALU_CYCLE_1)
	s_and_saveexec_b32 s22, s8
	s_cbranch_execz .LBB4_145
; %bb.136:                              ;   in Loop: Header=BB4_130 Depth=3
	s_mov_b32 s26, 1
	s_mov_b32 s24, 0
                                        ; implicit-def: $sgpr23
                                        ; implicit-def: $sgpr25
	s_branch .LBB4_138
.LBB4_137:                              ;   in Loop: Header=BB4_138 Depth=4
	s_or_b32 exec_lo, exec_lo, s28
	s_delay_alu instid0(SALU_CYCLE_1) | instskip(NEXT) | instid1(SALU_CYCLE_1)
	s_and_b32 s8, exec_lo, s8
	s_or_b32 s24, s8, s24
	s_and_not1_b32 s8, s23, exec_lo
	s_and_b32 s23, s25, exec_lo
	s_delay_alu instid0(SALU_CYCLE_1)
	s_or_b32 s23, s8, s23
	s_and_not1_b32 exec_lo, exec_lo, s24
	s_cbranch_execz .LBB4_142
.LBB4_138:                              ;   Parent Loop BB4_36 Depth=1
                                        ;     Parent Loop BB4_85 Depth=2
                                        ;       Parent Loop BB4_130 Depth=3
                                        ; =>      This Inner Loop Header: Depth=4
	s_wait_loadcnt 0x0
	global_load_b128 v[16:19], v[4:5], off th:TH_LOAD_NT
	s_add_co_i32 s26, s26, 1
	s_mov_b32 s8, -1
	s_cmp_lg_u32 s26, 0x2710
	s_mov_b32 s27, -1
                                        ; implicit-def: $vgpr54
	s_cbranch_scc0 .LBB4_140
; %bb.139:                              ;   in Loop: Header=BB4_138 Depth=4
	s_or_b32 s25, s25, exec_lo
	s_wait_xcnt 0x0
	s_and_saveexec_b32 s28, s27
	s_cbranch_execz .LBB4_137
	s_branch .LBB4_141
.LBB4_140:                              ;   in Loop: Header=BB4_138 Depth=4
	s_trap 2
	ds_load_b64 v[46:47], v0
	s_mov_b32 s26, 0
	s_wait_storecnt 0x0
	s_wait_loadcnt_dscnt 0x0
	flat_load_b32 v54, v[46:47] scope:SCOPE_SYS
	s_wait_loadcnt_dscnt 0x0
	global_inv scope:SCOPE_SYS
	v_cmp_eq_u32_e32 vcc_lo, 0, v54
	s_or_not1_b32 s27, vcc_lo, exec_lo
	s_or_b32 s25, s25, exec_lo
	s_wait_xcnt 0x0
	s_and_saveexec_b32 s28, s27
	s_cbranch_execz .LBB4_137
.LBB4_141:                              ;   in Loop: Header=BB4_138 Depth=4
	s_wait_loadcnt 0x0
	v_cmp_eq_u32_e32 vcc_lo, v62, v17
	v_cmp_eq_u32_e64 s8, v62, v19
	s_and_not1_b32 s25, s25, exec_lo
	s_and_b32 s8, vcc_lo, s8
	s_delay_alu instid0(SALU_CYCLE_1)
	s_or_not1_b32 s8, s8, exec_lo
	s_branch .LBB4_137
.LBB4_142:                              ;   in Loop: Header=BB4_130 Depth=3
	s_or_b32 exec_lo, exec_lo, s24
	v_mov_b32_e32 v59, 0
	s_and_saveexec_b32 s8, s23
	s_delay_alu instid0(SALU_CYCLE_1)
	s_xor_b32 s8, exec_lo, s8
	s_cbranch_execz .LBB4_144
; %bb.143:                              ;   in Loop: Header=BB4_130 Depth=3
	v_mov_b32_e32 v59, 1
	s_wait_loadcnt 0x0
	s_wait_storecnt 0x0
	ds_store_b32 v0, v54
	s_trap 2
.LBB4_144:                              ;   in Loop: Header=BB4_130 Depth=3
	s_or_b32 exec_lo, exec_lo, s8
.LBB4_145:                              ;   in Loop: Header=BB4_130 Depth=3
	s_delay_alu instid0(SALU_CYCLE_1)
	s_or_b32 exec_lo, exec_lo, s22
.LBB4_146:                              ;   in Loop: Header=BB4_130 Depth=3
	s_delay_alu instid0(SALU_CYCLE_1) | instskip(SKIP_3) | instid1(VALU_DEP_2)
	s_or_b32 exec_lo, exec_lo, s21
	s_wait_loadcnt 0x0
	v_and_b32_e32 v5, 0xff, v16
	v_mov_b32_e32 v4, 0
	v_cmp_ne_u16_e32 vcc_lo, 0, v5
	v_mov_b32_e32 v5, 0
	s_and_saveexec_b32 s8, vcc_lo
	s_cbranch_execz .LBB4_156
; %bb.147:                              ;   in Loop: Header=BB4_130 Depth=3
	v_bfe_i32 v46, v16, 0, 8
	v_bfrev_b32_e32 v5, 1
	s_mov_b32 s21, exec_lo
	s_delay_alu instid0(VALU_DEP_2)
	v_cmpx_ne_u16_e32 0xff80, v46
	s_cbranch_execz .LBB4_155
; %bb.148:                              ;   in Loop: Header=BB4_130 Depth=3
	v_and_b32_e32 v5, 0x7c, v16
	v_and_b32_e32 v54, 3, v16
	s_delay_alu instid0(VALU_DEP_2) | instskip(SKIP_1) | instid1(SALU_CYCLE_1)
	v_cmp_ne_u32_e32 vcc_lo, 0x7c, v5
                                        ; implicit-def: $vgpr5
	s_and_saveexec_b32 s22, vcc_lo
	s_xor_b32 s22, exec_lo, s22
	s_cbranch_execz .LBB4_152
; %bb.149:                              ;   in Loop: Header=BB4_130 Depth=3
	v_bfe_u32 v5, v16, 2, 5
	s_mov_b32 s23, exec_lo
	s_delay_alu instid0(VALU_DEP_1)
	v_cmpx_eq_u32_e32 0, v5
; %bb.150:                              ;   in Loop: Header=BB4_130 Depth=3
	v_clz_i32_u32_e32 v5, v54
	s_delay_alu instid0(VALU_DEP_1) | instskip(NEXT) | instid1(VALU_DEP_1)
	v_min_u32_e32 v5, 32, v5
	v_subrev_nc_u32_e32 v54, 29, v5
	s_delay_alu instid0(VALU_DEP_1) | instskip(NEXT) | instid1(VALU_DEP_1)
	v_lshlrev_b64_e32 v[46:47], v54, v[16:17]
	v_dual_sub_nc_u32 v5, 30, v5 :: v_dual_bitop2_b32 v54, 3, v46 bitop3:0x40
; %bb.151:                              ;   in Loop: Header=BB4_130 Depth=3
	s_or_b32 exec_lo, exec_lo, s23
	v_lshlrev_b32_e32 v17, 24, v16
                                        ; implicit-def: $vgpr46
	s_delay_alu instid0(VALU_DEP_1) | instskip(NEXT) | instid1(VALU_DEP_1)
	v_and_b32_e32 v17, 0x80000000, v17
	v_lshl_add_u32 v5, v5, 23, v17
	s_delay_alu instid0(VALU_DEP_1) | instskip(NEXT) | instid1(VALU_DEP_1)
	v_lshl_or_b32 v5, v54, 21, v5
                                        ; implicit-def: $vgpr54
	v_add_nc_u32_e32 v5, 0x38000000, v5
.LBB4_152:                              ;   in Loop: Header=BB4_130 Depth=3
	s_and_not1_saveexec_b32 s22, s22
; %bb.153:                              ;   in Loop: Header=BB4_130 Depth=3
	v_cmp_lt_i16_e32 vcc_lo, -1, v46
	v_cndmask_b32_e32 v5, 0xff800000, v21, vcc_lo
	v_cmp_eq_u32_e32 vcc_lo, 0, v54
	s_delay_alu instid0(VALU_DEP_2)
	v_cndmask_b32_e32 v5, 0x7f800001, v5, vcc_lo
; %bb.154:                              ;   in Loop: Header=BB4_130 Depth=3
	s_or_b32 exec_lo, exec_lo, s22
.LBB4_155:                              ;   in Loop: Header=BB4_130 Depth=3
	s_delay_alu instid0(SALU_CYCLE_1)
	s_or_b32 exec_lo, exec_lo, s21
.LBB4_156:                              ;   in Loop: Header=BB4_130 Depth=3
	s_delay_alu instid0(SALU_CYCLE_1) | instskip(SKIP_2) | instid1(VALU_DEP_1)
	s_or_b32 exec_lo, exec_lo, s8
	v_lshlrev_b32_e32 v76, 3, v40
	s_mov_b32 s8, exec_lo
	v_alignbit_b32 v54, v75, v2, v76
	s_delay_alu instid0(VALU_DEP_1) | instskip(NEXT) | instid1(VALU_DEP_1)
	v_and_b32_e32 v2, 0xff, v54
	v_cmpx_ne_u16_e32 0, v2
	s_cbranch_execz .LBB4_166
; %bb.157:                              ;   in Loop: Header=BB4_130 Depth=3
	v_bfe_i32 v17, v54, 0, 8
	v_bfrev_b32_e32 v4, 1
	s_mov_b32 s21, exec_lo
	s_delay_alu instid0(VALU_DEP_2)
	v_cmpx_ne_u16_e32 0xff80, v17
	s_cbranch_execz .LBB4_165
; %bb.158:                              ;   in Loop: Header=BB4_130 Depth=3
	v_and_b32_e32 v4, 0x7c, v54
	v_and_b32_e32 v2, 3, v54
	s_delay_alu instid0(VALU_DEP_2) | instskip(SKIP_1) | instid1(SALU_CYCLE_1)
	v_cmp_ne_u32_e32 vcc_lo, 0x7c, v4
                                        ; implicit-def: $vgpr4
	s_and_saveexec_b32 s22, vcc_lo
	s_xor_b32 s22, exec_lo, s22
	s_cbranch_execz .LBB4_162
; %bb.159:                              ;   in Loop: Header=BB4_130 Depth=3
	v_bfe_u32 v4, v54, 2, 5
	s_mov_b32 s23, exec_lo
	s_delay_alu instid0(VALU_DEP_1)
	v_cmpx_eq_u32_e32 0, v4
; %bb.160:                              ;   in Loop: Header=BB4_130 Depth=3
	v_clz_i32_u32_e32 v2, v2
	s_delay_alu instid0(VALU_DEP_1) | instskip(NEXT) | instid1(VALU_DEP_1)
	v_min_u32_e32 v2, 32, v2
	v_subrev_nc_u32_e32 v4, 29, v2
	s_delay_alu instid0(VALU_DEP_1) | instskip(SKIP_1) | instid1(VALU_DEP_2)
	v_lshlrev_b64_e32 v[46:47], v4, v[54:55]
	v_sub_nc_u32_e32 v4, 30, v2
	v_and_b32_e32 v2, 3, v46
; %bb.161:                              ;   in Loop: Header=BB4_130 Depth=3
	s_or_b32 exec_lo, exec_lo, s23
	v_lshlrev_b32_e32 v17, 24, v54
	s_delay_alu instid0(VALU_DEP_1) | instskip(NEXT) | instid1(VALU_DEP_1)
	v_and_b32_e32 v17, 0x80000000, v17
	v_lshl_add_u32 v4, v4, 23, v17
                                        ; implicit-def: $vgpr17
	s_delay_alu instid0(VALU_DEP_1) | instskip(NEXT) | instid1(VALU_DEP_1)
	v_lshl_or_b32 v2, v2, 21, v4
	v_add_nc_u32_e32 v4, 0x38000000, v2
                                        ; implicit-def: $vgpr2
.LBB4_162:                              ;   in Loop: Header=BB4_130 Depth=3
	s_and_not1_saveexec_b32 s22, s22
; %bb.163:                              ;   in Loop: Header=BB4_130 Depth=3
	v_cmp_lt_i16_e32 vcc_lo, -1, v17
	v_cndmask_b32_e32 v4, 0xff800000, v21, vcc_lo
	v_cmp_eq_u32_e32 vcc_lo, 0, v2
	s_delay_alu instid0(VALU_DEP_2)
	v_cndmask_b32_e32 v4, 0x7f800001, v4, vcc_lo
; %bb.164:                              ;   in Loop: Header=BB4_130 Depth=3
	s_or_b32 exec_lo, exec_lo, s22
.LBB4_165:                              ;   in Loop: Header=BB4_130 Depth=3
	s_delay_alu instid0(SALU_CYCLE_1)
	s_or_b32 exec_lo, exec_lo, s21
.LBB4_166:                              ;   in Loop: Header=BB4_130 Depth=3
	s_delay_alu instid0(SALU_CYCLE_1) | instskip(NEXT) | instid1(VALU_DEP_1)
	s_or_b32 exec_lo, exec_lo, s8
	v_dual_mul_f32 v17, v5, v4 :: v_dual_mov_b32 v47, v55
	v_mov_b32_e32 v5, v55
                                        ; implicit-def: $vgpr72
	s_mov_b32 s8, exec_lo
	s_delay_alu instid0(VALU_DEP_2) | instskip(SKIP_2) | instid1(VALU_DEP_3)
	v_and_b32_e32 v46, 0x7f800000, v17
	v_and_b32_e32 v4, 0x7fffff, v17
	v_lshrrev_b32_e32 v2, 24, v17
	v_cmpx_ne_u64_e32 0x7f800000, v[46:47]
	s_xor_b32 s21, exec_lo, s8
	s_cbranch_execz .LBB4_180
; %bb.167:                              ;   in Loop: Header=BB4_130 Depth=3
	v_and_b32_e32 v46, 0x7fffffff, v17
	v_mov_b32_e32 v47, v55
	v_and_b32_e32 v2, 0x80, v2
                                        ; implicit-def: $vgpr72
	s_mov_b32 s8, exec_lo
	s_delay_alu instid0(VALU_DEP_2)
	v_cmpx_gt_u64_e32 0x47600001, v[46:47]
	s_xor_b32 s22, exec_lo, s8
	s_cbranch_execz .LBB4_177
; %bb.168:                              ;   in Loop: Header=BB4_130 Depth=3
	v_mov_b32_e32 v72, 0
	s_mov_b32 s23, exec_lo
	v_cmpx_ne_u32_e32 0, v17
	s_cbranch_execz .LBB4_176
; %bb.169:                              ;   in Loop: Header=BB4_130 Depth=3
	v_bfe_u32 v17, v17, 23, 8
	v_or_b32_e32 v73, 0x800000, v4
	s_delay_alu instid0(VALU_DEP_2) | instskip(SKIP_1) | instid1(VALU_DEP_2)
	v_sub_nc_u32_e32 v46, 0x71, v17
	v_cmp_gt_u32_e32 vcc_lo, 0x72, v17
	v_cndmask_b32_e32 v46, 0, v46, vcc_lo
	v_cmp_eq_u32_e32 vcc_lo, 0, v17
	s_delay_alu instid0(VALU_DEP_2) | instskip(SKIP_1) | instid1(VALU_DEP_2)
	v_cndmask_b32_e64 v72, v46, 0x70, vcc_lo
	v_cndmask_b32_e32 v4, v73, v4, vcc_lo
	v_dual_add_nc_u32 v46, 21, v72 :: v_dual_add_nc_u32 v77, 20, v72
	s_delay_alu instid0(VALU_DEP_1) | instskip(NEXT) | instid1(VALU_DEP_2)
	v_lshlrev_b64_e64 v[46:47], v46, -1
	v_lshlrev_b64_e64 v[78:79], v77, 1
	s_delay_alu instid0(VALU_DEP_2) | instskip(SKIP_1) | instid1(VALU_DEP_4)
	v_bfi_b32 v46, v46, 0, v4
	v_lshrrev_b64 v[4:5], v72, v[4:5]
	v_bfi_b32 v47, v47, 0, 0
	s_delay_alu instid0(VALU_DEP_1) | instskip(NEXT) | instid1(VALU_DEP_3)
	v_cmp_eq_u64_e64 s8, v[46:47], v[78:79]
	v_mov_b64_e32 v[46:47], v[4:5]
	s_and_saveexec_b32 s24, s8
; %bb.170:                              ;   in Loop: Header=BB4_130 Depth=3
	v_bfe_u32 v46, v4, 21, 1
	v_mov_b32_e32 v47, v55
	s_delay_alu instid0(VALU_DEP_1) | instskip(NEXT) | instid1(VALU_DEP_1)
	v_add_nc_u64_e32 v[46:47], v[4:5], v[46:47]
	v_add_nc_u64_e32 v[46:47], -1, v[46:47]
; %bb.171:                              ;   in Loop: Header=BB4_130 Depth=3
	s_or_b32 exec_lo, exec_lo, s24
	v_add_nc_u32_e32 v5, 0xffffff81, v17
	v_lshrrev_b32_e32 v17, 23, v4
	s_mov_b32 s8, exec_lo
	s_delay_alu instid0(VALU_DEP_2) | instskip(NEXT) | instid1(VALU_DEP_1)
	v_cndmask_b32_e64 v5, v5, 0xffffff82, vcc_lo
	v_add3_u32 v47, v72, v5, v17
	v_and_b32_e32 v5, 0x1fffff, v46
                                        ; implicit-def: $vgpr17
	s_delay_alu instid0(VALU_DEP_1) | instskip(SKIP_1) | instid1(VALU_DEP_2)
	v_dual_add_nc_u32 v46, 14, v47 :: v_dual_add_nc_u32 v4, v5, v4
	v_mov_b32_e32 v5, v55
	v_cmpx_ne_u32_e32 0, v46
	s_xor_b32 s8, exec_lo, s8
; %bb.172:                              ;   in Loop: Header=BB4_130 Depth=3
	s_delay_alu instid0(VALU_DEP_2) | instskip(SKIP_1) | instid1(VALU_DEP_1)
	v_cmp_lt_u64_e32 vcc_lo, 0xffffff, v[4:5]
	v_add_nc_u32_e32 v17, 15, v47
	v_cndmask_b32_e32 v17, v46, v17, vcc_lo
	v_cndmask_b32_e64 v46, 0, 1, vcc_lo
	s_delay_alu instid0(VALU_DEP_1)
	v_lshrrev_b64 v[4:5], v46, v[4:5]
; %bb.173:                              ;   in Loop: Header=BB4_130 Depth=3
	s_and_not1_saveexec_b32 s8, s8
; %bb.174:                              ;   in Loop: Header=BB4_130 Depth=3
	s_delay_alu instid0(VALU_DEP_1)
	v_bfe_u32 v17, v4, 23, 1
; %bb.175:                              ;   in Loop: Header=BB4_130 Depth=3
	s_or_b32 exec_lo, exec_lo, s8
	s_delay_alu instid0(VALU_DEP_2) | instskip(NEXT) | instid1(VALU_DEP_2)
	v_lshrrev_b64 v[4:5], 21, v[4:5]
	v_cmp_gt_i32_e32 vcc_lo, 32, v17
	v_min_i32_e32 v46, 31, v17
	v_cmp_eq_u32_e64 s8, 0, v17
	s_delay_alu instid0(VALU_DEP_2) | instskip(SKIP_1) | instid1(VALU_DEP_2)
	v_dual_cndmask_b32 v4, 3, v4, vcc_lo :: v_dual_lshlrev_b32 v46, 2, v46
	v_cndmask_b32_e32 v5, 0, v5, vcc_lo
	v_and_b32_e32 v46, 0xfc, v46
	s_delay_alu instid0(VALU_DEP_2) | instskip(NEXT) | instid1(VALU_DEP_2)
	v_cmp_eq_u64_e32 vcc_lo, 0, v[4:5]
	v_and_or_b32 v4, v4, 3, v46
	s_and_b32 s8, s8, vcc_lo
	s_delay_alu instid0(VALU_DEP_1) | instid1(SALU_CYCLE_1)
	v_cndmask_b32_e64 v4, v4, 0, s8
	s_delay_alu instid0(VALU_DEP_1)
	v_or_b32_e32 v72, v4, v2
.LBB4_176:                              ;   in Loop: Header=BB4_130 Depth=3
	s_or_b32 exec_lo, exec_lo, s23
                                        ; implicit-def: $vgpr2
.LBB4_177:                              ;   in Loop: Header=BB4_130 Depth=3
	s_and_not1_saveexec_b32 s8, s22
; %bb.178:                              ;   in Loop: Header=BB4_130 Depth=3
	v_or_b32_e32 v72, 0x7b, v2
; %bb.179:                              ;   in Loop: Header=BB4_130 Depth=3
	s_or_b32 exec_lo, exec_lo, s8
                                        ; implicit-def: $vgpr17
                                        ; implicit-def: $vgpr4_vgpr5
                                        ; implicit-def: $vgpr2
.LBB4_180:                              ;   in Loop: Header=BB4_130 Depth=3
	s_and_not1_saveexec_b32 s8, s21
	s_cbranch_execz .LBB4_186
; %bb.181:                              ;   in Loop: Header=BB4_130 Depth=3
	s_mov_b32 s21, exec_lo
                                        ; implicit-def: $vgpr72
	v_cmpx_ne_u64_e32 0, v[4:5]
	s_xor_b32 s21, exec_lo, s21
; %bb.182:                              ;   in Loop: Header=BB4_130 Depth=3
	v_or_b32_e32 v72, 0x7f, v2
                                        ; implicit-def: $vgpr17
; %bb.183:                              ;   in Loop: Header=BB4_130 Depth=3
	s_and_not1_saveexec_b32 s21, s21
; %bb.184:                              ;   in Loop: Header=BB4_130 Depth=3
	v_cmp_lt_i32_e32 vcc_lo, -1, v17
	v_cndmask_b32_e32 v72, 0xfc, v58, vcc_lo
; %bb.185:                              ;   in Loop: Header=BB4_130 Depth=3
	s_or_b32 exec_lo, exec_lo, s21
.LBB4_186:                              ;   in Loop: Header=BB4_130 Depth=3
	s_delay_alu instid0(SALU_CYCLE_1) | instskip(SKIP_3) | instid1(VALU_DEP_2)
	s_or_b32 exec_lo, exec_lo, s8
	v_lshrrev_b16 v4, 8, v16
	v_dual_mov_b32 v2, 0 :: v_dual_mov_b32 v17, 0
	s_mov_b32 s8, exec_lo
	v_cmpx_ne_u16_e32 0, v4
	s_cbranch_execz .LBB4_196
; %bb.187:                              ;   in Loop: Header=BB4_130 Depth=3
	v_bfrev_b32_e32 v17, 1
	s_mov_b32 s21, exec_lo
	v_cmpx_ne_u16_e32 0x80, v4
	s_cbranch_execz .LBB4_195
; %bb.188:                              ;   in Loop: Header=BB4_130 Depth=3
	v_and_b32_e32 v46, 0xffff, v4
	s_delay_alu instid0(VALU_DEP_1) | instskip(SKIP_1) | instid1(VALU_DEP_2)
	v_and_b32_e32 v17, 0x7c, v46
	v_and_b32_e32 v5, 3, v46
	v_cmp_ne_u32_e32 vcc_lo, 0x7c, v17
                                        ; implicit-def: $vgpr17
	s_and_saveexec_b32 s22, vcc_lo
	s_delay_alu instid0(SALU_CYCLE_1)
	s_xor_b32 s22, exec_lo, s22
	s_cbranch_execz .LBB4_192
; %bb.189:                              ;   in Loop: Header=BB4_130 Depth=3
	v_bfe_u32 v17, v46, 2, 5
	s_mov_b32 s23, exec_lo
	s_delay_alu instid0(VALU_DEP_1)
	v_cmpx_eq_u32_e32 0, v17
	s_cbranch_execz .LBB4_191
; %bb.190:                              ;   in Loop: Header=BB4_130 Depth=3
	v_clz_i32_u32_e32 v5, v5
	s_delay_alu instid0(VALU_DEP_1) | instskip(SKIP_1) | instid1(VALU_DEP_2)
	v_min_u32_e32 v17, 32, v5
	v_mov_b32_e32 v5, v55
	v_subrev_nc_u32_e32 v46, 29, v17
	v_sub_nc_u32_e32 v17, 30, v17
	s_delay_alu instid0(VALU_DEP_2) | instskip(NEXT) | instid1(VALU_DEP_1)
	v_lshlrev_b64_e32 v[4:5], v46, v[4:5]
	v_and_b32_e32 v5, 3, v4
.LBB4_191:                              ;   in Loop: Header=BB4_130 Depth=3
	s_or_b32 exec_lo, exec_lo, s23
	v_lshlrev_b32_e32 v4, 16, v16
	s_delay_alu instid0(VALU_DEP_1) | instskip(NEXT) | instid1(VALU_DEP_1)
	v_and_b32_e32 v4, 0x80000000, v4
	v_lshl_add_u32 v4, v17, 23, v4
	s_delay_alu instid0(VALU_DEP_1) | instskip(NEXT) | instid1(VALU_DEP_1)
	v_lshl_or_b32 v4, v5, 21, v4
                                        ; implicit-def: $vgpr5
	v_add_nc_u32_e32 v17, 0x38000000, v4
.LBB4_192:                              ;   in Loop: Header=BB4_130 Depth=3
	s_and_not1_saveexec_b32 s22, s22
; %bb.193:                              ;   in Loop: Header=BB4_130 Depth=3
	v_cmp_lt_i16_e32 vcc_lo, -1, v16
	v_cndmask_b32_e32 v4, 0xff800000, v21, vcc_lo
	v_cmp_eq_u32_e32 vcc_lo, 0, v5
	s_delay_alu instid0(VALU_DEP_2)
	v_cndmask_b32_e32 v17, 0x7f800001, v4, vcc_lo
; %bb.194:                              ;   in Loop: Header=BB4_130 Depth=3
	s_or_b32 exec_lo, exec_lo, s22
.LBB4_195:                              ;   in Loop: Header=BB4_130 Depth=3
	s_delay_alu instid0(SALU_CYCLE_1)
	s_or_b32 exec_lo, exec_lo, s21
.LBB4_196:                              ;   in Loop: Header=BB4_130 Depth=3
	s_delay_alu instid0(SALU_CYCLE_1) | instskip(SKIP_2) | instid1(VALU_DEP_1)
	s_or_b32 exec_lo, exec_lo, s8
	v_lshrrev_b16 v4, 8, v54
	s_mov_b32 s8, exec_lo
	v_cmpx_ne_u16_e32 0, v4
	s_cbranch_execz .LBB4_206
; %bb.197:                              ;   in Loop: Header=BB4_130 Depth=3
	v_bfrev_b32_e32 v2, 1
	s_mov_b32 s21, exec_lo
	v_cmpx_ne_u16_e32 0x80, v4
	s_cbranch_execz .LBB4_205
; %bb.198:                              ;   in Loop: Header=BB4_130 Depth=3
	v_and_b32_e32 v46, 0xffff, v4
	s_delay_alu instid0(VALU_DEP_1) | instskip(SKIP_1) | instid1(VALU_DEP_2)
	v_and_b32_e32 v2, 0x7c, v46
	v_and_b32_e32 v5, 3, v46
	v_cmp_ne_u32_e32 vcc_lo, 0x7c, v2
                                        ; implicit-def: $vgpr2
	s_and_saveexec_b32 s22, vcc_lo
	s_delay_alu instid0(SALU_CYCLE_1)
	s_xor_b32 s22, exec_lo, s22
	s_cbranch_execz .LBB4_202
; %bb.199:                              ;   in Loop: Header=BB4_130 Depth=3
	v_bfe_u32 v2, v46, 2, 5
	s_mov_b32 s23, exec_lo
	s_delay_alu instid0(VALU_DEP_1)
	v_cmpx_eq_u32_e32 0, v2
	s_cbranch_execz .LBB4_201
; %bb.200:                              ;   in Loop: Header=BB4_130 Depth=3
	v_clz_i32_u32_e32 v2, v5
	s_delay_alu instid0(VALU_DEP_1) | instskip(SKIP_1) | instid1(VALU_DEP_2)
	v_min_u32_e32 v2, 32, v2
	v_mov_b32_e32 v5, v55
	v_subrev_nc_u32_e32 v46, 29, v2
	v_sub_nc_u32_e32 v2, 30, v2
	s_delay_alu instid0(VALU_DEP_2) | instskip(NEXT) | instid1(VALU_DEP_1)
	v_lshlrev_b64_e32 v[4:5], v46, v[4:5]
	v_and_b32_e32 v5, 3, v4
.LBB4_201:                              ;   in Loop: Header=BB4_130 Depth=3
	s_or_b32 exec_lo, exec_lo, s23
	v_lshlrev_b32_e32 v4, 16, v54
	s_delay_alu instid0(VALU_DEP_1) | instskip(NEXT) | instid1(VALU_DEP_1)
	v_and_b32_e32 v4, 0x80000000, v4
	v_lshl_add_u32 v2, v2, 23, v4
	s_delay_alu instid0(VALU_DEP_1) | instskip(NEXT) | instid1(VALU_DEP_1)
	v_lshl_or_b32 v2, v5, 21, v2
                                        ; implicit-def: $vgpr5
	v_add_nc_u32_e32 v2, 0x38000000, v2
.LBB4_202:                              ;   in Loop: Header=BB4_130 Depth=3
	s_and_not1_saveexec_b32 s22, s22
; %bb.203:                              ;   in Loop: Header=BB4_130 Depth=3
	v_cmp_lt_i16_e32 vcc_lo, -1, v54
	v_cndmask_b32_e32 v2, 0xff800000, v21, vcc_lo
	v_cmp_eq_u32_e32 vcc_lo, 0, v5
	s_delay_alu instid0(VALU_DEP_2)
	v_cndmask_b32_e32 v2, 0x7f800001, v2, vcc_lo
; %bb.204:                              ;   in Loop: Header=BB4_130 Depth=3
	s_or_b32 exec_lo, exec_lo, s22
.LBB4_205:                              ;   in Loop: Header=BB4_130 Depth=3
	s_delay_alu instid0(SALU_CYCLE_1)
	s_or_b32 exec_lo, exec_lo, s21
.LBB4_206:                              ;   in Loop: Header=BB4_130 Depth=3
	s_delay_alu instid0(SALU_CYCLE_1) | instskip(NEXT) | instid1(VALU_DEP_1)
	s_or_b32 exec_lo, exec_lo, s8
	v_dual_mul_f32 v17, v17, v2 :: v_dual_mov_b32 v47, v55
	v_mov_b32_e32 v5, v55
                                        ; implicit-def: $vgpr73
	s_mov_b32 s8, exec_lo
	s_delay_alu instid0(VALU_DEP_2) | instskip(SKIP_2) | instid1(VALU_DEP_3)
	v_and_b32_e32 v46, 0x7f800000, v17
	v_and_b32_e32 v4, 0x7fffff, v17
	v_lshrrev_b32_e32 v2, 24, v17
	v_cmpx_ne_u64_e32 0x7f800000, v[46:47]
	s_xor_b32 s21, exec_lo, s8
	s_cbranch_execz .LBB4_220
; %bb.207:                              ;   in Loop: Header=BB4_130 Depth=3
	v_and_b32_e32 v46, 0x7fffffff, v17
	v_mov_b32_e32 v47, v55
	v_and_b32_e32 v2, 0x80, v2
                                        ; implicit-def: $vgpr73
	s_mov_b32 s8, exec_lo
	s_delay_alu instid0(VALU_DEP_2)
	v_cmpx_gt_u64_e32 0x47600001, v[46:47]
	s_xor_b32 s22, exec_lo, s8
	s_cbranch_execz .LBB4_217
; %bb.208:                              ;   in Loop: Header=BB4_130 Depth=3
	v_mov_b32_e32 v73, 0
	s_mov_b32 s23, exec_lo
	v_cmpx_ne_u32_e32 0, v17
	s_cbranch_execz .LBB4_216
; %bb.209:                              ;   in Loop: Header=BB4_130 Depth=3
	v_bfe_u32 v17, v17, 23, 8
	v_or_b32_e32 v77, 0x800000, v4
	s_delay_alu instid0(VALU_DEP_2) | instskip(SKIP_1) | instid1(VALU_DEP_2)
	v_sub_nc_u32_e32 v46, 0x71, v17
	v_cmp_gt_u32_e32 vcc_lo, 0x72, v17
	v_cndmask_b32_e32 v46, 0, v46, vcc_lo
	v_cmp_eq_u32_e32 vcc_lo, 0, v17
	s_delay_alu instid0(VALU_DEP_2) | instskip(NEXT) | instid1(VALU_DEP_1)
	v_cndmask_b32_e64 v73, v46, 0x70, vcc_lo
	v_dual_cndmask_b32 v4, v77, v4, vcc_lo :: v_dual_add_nc_u32 v46, 21, v73
	v_add_nc_u32_e32 v78, 20, v73
	s_delay_alu instid0(VALU_DEP_2) | instskip(NEXT) | instid1(VALU_DEP_2)
	v_lshlrev_b64_e64 v[46:47], v46, -1
	v_lshlrev_b64_e64 v[78:79], v78, 1
	s_delay_alu instid0(VALU_DEP_2) | instskip(SKIP_1) | instid1(VALU_DEP_4)
	v_bfi_b32 v46, v46, 0, v4
	v_lshrrev_b64 v[4:5], v73, v[4:5]
	v_bfi_b32 v47, v47, 0, 0
	s_delay_alu instid0(VALU_DEP_1) | instskip(NEXT) | instid1(VALU_DEP_3)
	v_cmp_eq_u64_e64 s8, v[46:47], v[78:79]
	v_mov_b64_e32 v[46:47], v[4:5]
	s_and_saveexec_b32 s24, s8
; %bb.210:                              ;   in Loop: Header=BB4_130 Depth=3
	v_bfe_u32 v46, v4, 21, 1
	v_mov_b32_e32 v47, v55
	s_delay_alu instid0(VALU_DEP_1) | instskip(NEXT) | instid1(VALU_DEP_1)
	v_add_nc_u64_e32 v[46:47], v[4:5], v[46:47]
	v_add_nc_u64_e32 v[46:47], -1, v[46:47]
; %bb.211:                              ;   in Loop: Header=BB4_130 Depth=3
	s_or_b32 exec_lo, exec_lo, s24
	v_add_nc_u32_e32 v5, 0xffffff81, v17
	v_lshrrev_b32_e32 v17, 23, v4
	s_mov_b32 s8, exec_lo
	s_delay_alu instid0(VALU_DEP_2) | instskip(NEXT) | instid1(VALU_DEP_1)
	v_cndmask_b32_e64 v5, v5, 0xffffff82, vcc_lo
	v_add3_u32 v47, v73, v5, v17
	v_and_b32_e32 v5, 0x1fffff, v46
                                        ; implicit-def: $vgpr17
	s_delay_alu instid0(VALU_DEP_1) | instskip(SKIP_1) | instid1(VALU_DEP_2)
	v_dual_add_nc_u32 v46, 14, v47 :: v_dual_add_nc_u32 v4, v5, v4
	v_mov_b32_e32 v5, v55
	v_cmpx_ne_u32_e32 0, v46
	s_xor_b32 s8, exec_lo, s8
; %bb.212:                              ;   in Loop: Header=BB4_130 Depth=3
	s_delay_alu instid0(VALU_DEP_2) | instskip(SKIP_1) | instid1(VALU_DEP_1)
	v_cmp_lt_u64_e32 vcc_lo, 0xffffff, v[4:5]
	v_add_nc_u32_e32 v17, 15, v47
	v_cndmask_b32_e32 v17, v46, v17, vcc_lo
	v_cndmask_b32_e64 v46, 0, 1, vcc_lo
	s_delay_alu instid0(VALU_DEP_1)
	v_lshrrev_b64 v[4:5], v46, v[4:5]
; %bb.213:                              ;   in Loop: Header=BB4_130 Depth=3
	s_and_not1_saveexec_b32 s8, s8
; %bb.214:                              ;   in Loop: Header=BB4_130 Depth=3
	s_delay_alu instid0(VALU_DEP_1)
	v_bfe_u32 v17, v4, 23, 1
; %bb.215:                              ;   in Loop: Header=BB4_130 Depth=3
	s_or_b32 exec_lo, exec_lo, s8
	s_delay_alu instid0(VALU_DEP_2) | instskip(NEXT) | instid1(VALU_DEP_2)
	v_lshrrev_b64 v[4:5], 21, v[4:5]
	v_cmp_gt_i32_e32 vcc_lo, 32, v17
	v_min_i32_e32 v46, 31, v17
	v_cmp_eq_u32_e64 s8, 0, v17
	s_delay_alu instid0(VALU_DEP_2) | instskip(SKIP_1) | instid1(VALU_DEP_2)
	v_dual_cndmask_b32 v4, 3, v4, vcc_lo :: v_dual_lshlrev_b32 v46, 2, v46
	v_cndmask_b32_e32 v5, 0, v5, vcc_lo
	v_and_b32_e32 v46, 0xfc, v46
	s_delay_alu instid0(VALU_DEP_2) | instskip(NEXT) | instid1(VALU_DEP_2)
	v_cmp_eq_u64_e32 vcc_lo, 0, v[4:5]
	v_and_or_b32 v4, v4, 3, v46
	s_and_b32 s8, s8, vcc_lo
	s_delay_alu instid0(VALU_DEP_1) | instid1(SALU_CYCLE_1)
	v_cndmask_b32_e64 v4, v4, 0, s8
	s_delay_alu instid0(VALU_DEP_1)
	v_or_b32_e32 v73, v4, v2
.LBB4_216:                              ;   in Loop: Header=BB4_130 Depth=3
	s_or_b32 exec_lo, exec_lo, s23
                                        ; implicit-def: $vgpr2
.LBB4_217:                              ;   in Loop: Header=BB4_130 Depth=3
	s_and_not1_saveexec_b32 s8, s22
; %bb.218:                              ;   in Loop: Header=BB4_130 Depth=3
	v_or_b32_e32 v73, 0x7b, v2
; %bb.219:                              ;   in Loop: Header=BB4_130 Depth=3
	s_or_b32 exec_lo, exec_lo, s8
                                        ; implicit-def: $vgpr17
                                        ; implicit-def: $vgpr4_vgpr5
                                        ; implicit-def: $vgpr2
.LBB4_220:                              ;   in Loop: Header=BB4_130 Depth=3
	s_and_not1_saveexec_b32 s8, s21
	s_cbranch_execz .LBB4_226
; %bb.221:                              ;   in Loop: Header=BB4_130 Depth=3
	s_mov_b32 s21, exec_lo
                                        ; implicit-def: $vgpr73
	v_cmpx_ne_u64_e32 0, v[4:5]
	s_xor_b32 s21, exec_lo, s21
; %bb.222:                              ;   in Loop: Header=BB4_130 Depth=3
	v_or_b32_e32 v73, 0x7f, v2
                                        ; implicit-def: $vgpr17
; %bb.223:                              ;   in Loop: Header=BB4_130 Depth=3
	s_and_not1_saveexec_b32 s21, s21
; %bb.224:                              ;   in Loop: Header=BB4_130 Depth=3
	v_cmp_lt_i32_e32 vcc_lo, -1, v17
	v_cndmask_b32_e32 v73, 0xfc, v58, vcc_lo
; %bb.225:                              ;   in Loop: Header=BB4_130 Depth=3
	s_or_b32 exec_lo, exec_lo, s21
.LBB4_226:                              ;   in Loop: Header=BB4_130 Depth=3
	s_delay_alu instid0(SALU_CYCLE_1) | instskip(SKIP_3) | instid1(VALU_DEP_2)
	s_or_b32 exec_lo, exec_lo, s8
	v_dual_mov_b32 v5, 0 :: v_dual_lshrrev_b32 v2, 16, v16
	v_mov_b32_e32 v4, 0
	s_mov_b32 s8, exec_lo
	v_and_b32_e32 v17, 0xff, v2
	s_delay_alu instid0(VALU_DEP_1)
	v_cmpx_ne_u16_e32 0, v17
	s_cbranch_execz .LBB4_236
; %bb.227:                              ;   in Loop: Header=BB4_130 Depth=3
	v_bfrev_b32_e32 v4, 1
	s_mov_b32 s21, exec_lo
	v_cmpx_ne_u16_e32 0x80, v17
	s_cbranch_execz .LBB4_235
; %bb.228:                              ;   in Loop: Header=BB4_130 Depth=3
	v_and_b32_e32 v4, 0x7c0000, v16
	v_bfe_u32 v17, v16, 16, 2
	s_delay_alu instid0(VALU_DEP_2) | instskip(SKIP_1) | instid1(SALU_CYCLE_1)
	v_cmp_ne_u32_e32 vcc_lo, 0x7c0000, v4
                                        ; implicit-def: $vgpr4
	s_and_saveexec_b32 s22, vcc_lo
	s_xor_b32 s22, exec_lo, s22
	s_cbranch_execz .LBB4_232
; %bb.229:                              ;   in Loop: Header=BB4_130 Depth=3
	v_bfe_u32 v4, v16, 18, 5
	s_mov_b32 s23, exec_lo
	s_delay_alu instid0(VALU_DEP_1)
	v_cmpx_eq_u32_e32 0, v4
; %bb.230:                              ;   in Loop: Header=BB4_130 Depth=3
	v_clz_i32_u32_e32 v4, v17
	s_delay_alu instid0(VALU_DEP_1) | instskip(NEXT) | instid1(VALU_DEP_1)
	v_min_u32_e32 v4, 32, v4
	v_subrev_nc_u32_e32 v17, 29, v4
	s_delay_alu instid0(VALU_DEP_1) | instskip(NEXT) | instid1(VALU_DEP_1)
	v_lshlrev_b64_e32 v[46:47], v17, v[2:3]
	v_dual_sub_nc_u32 v4, 30, v4 :: v_dual_bitop2_b32 v17, 3, v46 bitop3:0x40
; %bb.231:                              ;   in Loop: Header=BB4_130 Depth=3
	s_or_b32 exec_lo, exec_lo, s23
	v_lshlrev_b32_e32 v2, 24, v2
	s_delay_alu instid0(VALU_DEP_1) | instskip(NEXT) | instid1(VALU_DEP_1)
	v_and_b32_e32 v2, 0x80000000, v2
	v_lshl_add_u32 v2, v4, 23, v2
	s_delay_alu instid0(VALU_DEP_1) | instskip(NEXT) | instid1(VALU_DEP_1)
	v_lshl_or_b32 v2, v17, 21, v2
                                        ; implicit-def: $vgpr17
	v_add_nc_u32_e32 v4, 0x38000000, v2
                                        ; implicit-def: $vgpr2
.LBB4_232:                              ;   in Loop: Header=BB4_130 Depth=3
	s_and_not1_saveexec_b32 s22, s22
; %bb.233:                              ;   in Loop: Header=BB4_130 Depth=3
	v_bfe_i32 v2, v2, 0, 8
	s_delay_alu instid0(VALU_DEP_1) | instskip(SKIP_2) | instid1(VALU_DEP_2)
	v_cmp_lt_i16_e32 vcc_lo, -1, v2
	v_cndmask_b32_e32 v2, 0xff800000, v21, vcc_lo
	v_cmp_eq_u32_e32 vcc_lo, 0, v17
	v_cndmask_b32_e32 v4, 0x7f800001, v2, vcc_lo
; %bb.234:                              ;   in Loop: Header=BB4_130 Depth=3
	s_or_b32 exec_lo, exec_lo, s22
.LBB4_235:                              ;   in Loop: Header=BB4_130 Depth=3
	s_delay_alu instid0(SALU_CYCLE_1)
	s_or_b32 exec_lo, exec_lo, s21
.LBB4_236:                              ;   in Loop: Header=BB4_130 Depth=3
	s_delay_alu instid0(SALU_CYCLE_1) | instskip(SKIP_2) | instid1(VALU_DEP_1)
	s_or_b32 exec_lo, exec_lo, s8
	v_lshrrev_b32_e32 v2, 16, v54
	s_mov_b32 s8, exec_lo
	v_and_b32_e32 v17, 0xff, v2
	s_delay_alu instid0(VALU_DEP_1)
	v_cmpx_ne_u16_e32 0, v17
	s_cbranch_execz .LBB4_246
; %bb.237:                              ;   in Loop: Header=BB4_130 Depth=3
	v_bfrev_b32_e32 v5, 1
	s_mov_b32 s21, exec_lo
	v_cmpx_ne_u16_e32 0x80, v17
	s_cbranch_execz .LBB4_245
; %bb.238:                              ;   in Loop: Header=BB4_130 Depth=3
	v_and_b32_e32 v5, 0x7c0000, v54
	v_bfe_u32 v17, v54, 16, 2
	s_delay_alu instid0(VALU_DEP_2) | instskip(SKIP_1) | instid1(SALU_CYCLE_1)
	v_cmp_ne_u32_e32 vcc_lo, 0x7c0000, v5
                                        ; implicit-def: $vgpr5
	s_and_saveexec_b32 s22, vcc_lo
	s_xor_b32 s22, exec_lo, s22
	s_cbranch_execz .LBB4_242
; %bb.239:                              ;   in Loop: Header=BB4_130 Depth=3
	v_bfe_u32 v5, v54, 18, 5
	v_lshrrev_b32_e32 v2, 16, v54
	s_mov_b32 s23, exec_lo
	s_delay_alu instid0(VALU_DEP_2)
	v_cmpx_eq_u32_e32 0, v5
; %bb.240:                              ;   in Loop: Header=BB4_130 Depth=3
	v_clz_i32_u32_e32 v5, v17
	s_delay_alu instid0(VALU_DEP_1) | instskip(NEXT) | instid1(VALU_DEP_1)
	v_min_u32_e32 v5, 32, v5
	v_subrev_nc_u32_e32 v17, 29, v5
	s_delay_alu instid0(VALU_DEP_1) | instskip(NEXT) | instid1(VALU_DEP_1)
	v_lshlrev_b64_e32 v[46:47], v17, v[2:3]
	v_dual_sub_nc_u32 v5, 30, v5 :: v_dual_bitop2_b32 v17, 3, v46 bitop3:0x40
; %bb.241:                              ;   in Loop: Header=BB4_130 Depth=3
	s_or_b32 exec_lo, exec_lo, s23
	v_lshlrev_b32_e32 v2, 24, v2
	s_delay_alu instid0(VALU_DEP_1) | instskip(NEXT) | instid1(VALU_DEP_1)
	v_and_b32_e32 v2, 0x80000000, v2
	v_lshl_add_u32 v2, v5, 23, v2
	s_delay_alu instid0(VALU_DEP_1) | instskip(NEXT) | instid1(VALU_DEP_1)
	v_lshl_or_b32 v2, v17, 21, v2
                                        ; implicit-def: $vgpr17
	v_add_nc_u32_e32 v5, 0x38000000, v2
                                        ; implicit-def: $vgpr2
.LBB4_242:                              ;   in Loop: Header=BB4_130 Depth=3
	s_and_not1_saveexec_b32 s22, s22
; %bb.243:                              ;   in Loop: Header=BB4_130 Depth=3
	v_bfe_i32 v2, v2, 0, 8
	s_delay_alu instid0(VALU_DEP_1) | instskip(SKIP_2) | instid1(VALU_DEP_2)
	v_cmp_lt_i16_e32 vcc_lo, -1, v2
	v_cndmask_b32_e32 v2, 0xff800000, v21, vcc_lo
	v_cmp_eq_u32_e32 vcc_lo, 0, v17
	v_cndmask_b32_e32 v5, 0x7f800001, v2, vcc_lo
; %bb.244:                              ;   in Loop: Header=BB4_130 Depth=3
	s_or_b32 exec_lo, exec_lo, s22
.LBB4_245:                              ;   in Loop: Header=BB4_130 Depth=3
	s_delay_alu instid0(SALU_CYCLE_1)
	s_or_b32 exec_lo, exec_lo, s21
.LBB4_246:                              ;   in Loop: Header=BB4_130 Depth=3
	s_delay_alu instid0(SALU_CYCLE_1) | instskip(NEXT) | instid1(VALU_DEP_1)
	s_or_b32 exec_lo, exec_lo, s8
	v_dual_mul_f32 v17, v4, v5 :: v_dual_mov_b32 v47, v55
	s_delay_alu instid0(VALU_DEP_1) | instskip(SKIP_2) | instid1(VALU_DEP_2)
	v_dual_mov_b32 v5, v55 :: v_dual_lshrrev_b32 v2, 24, v17
	v_and_b32_e32 v46, 0x7f800000, v17
	v_and_b32_e32 v4, 0x7fffff, v17
	v_cmp_ne_u64_e32 vcc_lo, 0x7f800000, v[46:47]
                                        ; implicit-def: $vgpr46
	s_and_saveexec_b32 s8, vcc_lo
	s_delay_alu instid0(SALU_CYCLE_1)
	s_xor_b32 s21, exec_lo, s8
	s_cbranch_execz .LBB4_260
; %bb.247:                              ;   in Loop: Header=BB4_130 Depth=3
	v_and_b32_e32 v46, 0x7fffffff, v17
	v_mov_b32_e32 v47, v55
	v_and_b32_e32 v2, 0x80, v2
	s_delay_alu instid0(VALU_DEP_2) | instskip(SKIP_1) | instid1(SALU_CYCLE_1)
	v_cmp_gt_u64_e32 vcc_lo, 0x47600001, v[46:47]
                                        ; implicit-def: $vgpr46
	s_and_saveexec_b32 s8, vcc_lo
	s_xor_b32 s22, exec_lo, s8
	s_cbranch_execz .LBB4_257
; %bb.248:                              ;   in Loop: Header=BB4_130 Depth=3
	v_mov_b32_e32 v46, 0
	s_mov_b32 s23, exec_lo
	v_cmpx_ne_u32_e32 0, v17
	s_cbranch_execz .LBB4_256
; %bb.249:                              ;   in Loop: Header=BB4_130 Depth=3
	v_bfe_u32 v17, v17, 23, 8
	v_or_b32_e32 v78, 0x800000, v4
	s_delay_alu instid0(VALU_DEP_2) | instskip(SKIP_1) | instid1(VALU_DEP_2)
	v_sub_nc_u32_e32 v46, 0x71, v17
	v_cmp_gt_u32_e32 vcc_lo, 0x72, v17
	v_cndmask_b32_e32 v46, 0, v46, vcc_lo
	v_cmp_eq_u32_e32 vcc_lo, 0, v17
	s_delay_alu instid0(VALU_DEP_2) | instskip(NEXT) | instid1(VALU_DEP_1)
	v_cndmask_b32_e64 v77, v46, 0x70, vcc_lo
	v_dual_cndmask_b32 v4, v78, v4, vcc_lo :: v_dual_add_nc_u32 v46, 21, v77
	v_add_nc_u32_e32 v79, 20, v77
	s_delay_alu instid0(VALU_DEP_2) | instskip(NEXT) | instid1(VALU_DEP_2)
	v_lshlrev_b64_e64 v[46:47], v46, -1
	v_lshlrev_b64_e64 v[78:79], v79, 1
	s_delay_alu instid0(VALU_DEP_2) | instskip(SKIP_1) | instid1(VALU_DEP_4)
	v_bfi_b32 v46, v46, 0, v4
	v_lshrrev_b64 v[4:5], v77, v[4:5]
	v_bfi_b32 v47, v47, 0, 0
	s_delay_alu instid0(VALU_DEP_1) | instskip(NEXT) | instid1(VALU_DEP_3)
	v_cmp_eq_u64_e64 s8, v[46:47], v[78:79]
	v_mov_b64_e32 v[46:47], v[4:5]
	s_and_saveexec_b32 s24, s8
; %bb.250:                              ;   in Loop: Header=BB4_130 Depth=3
	v_bfe_u32 v46, v4, 21, 1
	v_mov_b32_e32 v47, v55
	s_delay_alu instid0(VALU_DEP_1) | instskip(NEXT) | instid1(VALU_DEP_1)
	v_add_nc_u64_e32 v[46:47], v[4:5], v[46:47]
	v_add_nc_u64_e32 v[46:47], -1, v[46:47]
; %bb.251:                              ;   in Loop: Header=BB4_130 Depth=3
	s_or_b32 exec_lo, exec_lo, s24
	v_add_nc_u32_e32 v5, 0xffffff81, v17
	v_lshrrev_b32_e32 v17, 23, v4
	s_mov_b32 s8, exec_lo
	s_delay_alu instid0(VALU_DEP_2) | instskip(NEXT) | instid1(VALU_DEP_1)
	v_cndmask_b32_e64 v5, v5, 0xffffff82, vcc_lo
	v_add3_u32 v47, v77, v5, v17
	v_and_b32_e32 v5, 0x1fffff, v46
                                        ; implicit-def: $vgpr17
	s_delay_alu instid0(VALU_DEP_1) | instskip(SKIP_1) | instid1(VALU_DEP_2)
	v_dual_add_nc_u32 v46, 14, v47 :: v_dual_add_nc_u32 v4, v5, v4
	v_mov_b32_e32 v5, v55
	v_cmpx_ne_u32_e32 0, v46
	s_xor_b32 s8, exec_lo, s8
; %bb.252:                              ;   in Loop: Header=BB4_130 Depth=3
	s_delay_alu instid0(VALU_DEP_2) | instskip(SKIP_1) | instid1(VALU_DEP_1)
	v_cmp_lt_u64_e32 vcc_lo, 0xffffff, v[4:5]
	v_add_nc_u32_e32 v17, 15, v47
	v_cndmask_b32_e32 v17, v46, v17, vcc_lo
	v_cndmask_b32_e64 v46, 0, 1, vcc_lo
	s_delay_alu instid0(VALU_DEP_1)
	v_lshrrev_b64 v[4:5], v46, v[4:5]
; %bb.253:                              ;   in Loop: Header=BB4_130 Depth=3
	s_and_not1_saveexec_b32 s8, s8
; %bb.254:                              ;   in Loop: Header=BB4_130 Depth=3
	s_delay_alu instid0(VALU_DEP_1)
	v_bfe_u32 v17, v4, 23, 1
; %bb.255:                              ;   in Loop: Header=BB4_130 Depth=3
	s_or_b32 exec_lo, exec_lo, s8
	s_delay_alu instid0(VALU_DEP_2) | instskip(NEXT) | instid1(VALU_DEP_2)
	v_lshrrev_b64 v[4:5], 21, v[4:5]
	v_cmp_gt_i32_e32 vcc_lo, 32, v17
	v_min_i32_e32 v46, 31, v17
	v_cmp_eq_u32_e64 s8, 0, v17
	s_delay_alu instid0(VALU_DEP_2) | instskip(SKIP_1) | instid1(VALU_DEP_2)
	v_dual_cndmask_b32 v4, 3, v4, vcc_lo :: v_dual_lshlrev_b32 v46, 2, v46
	v_cndmask_b32_e32 v5, 0, v5, vcc_lo
	v_and_b32_e32 v46, 0xfc, v46
	s_delay_alu instid0(VALU_DEP_2) | instskip(NEXT) | instid1(VALU_DEP_2)
	v_cmp_eq_u64_e32 vcc_lo, 0, v[4:5]
	v_and_or_b32 v4, v4, 3, v46
	s_and_b32 s8, s8, vcc_lo
	s_delay_alu instid0(VALU_DEP_1) | instid1(SALU_CYCLE_1)
	v_cndmask_b32_e64 v4, v4, 0, s8
	s_delay_alu instid0(VALU_DEP_1)
	v_or_b32_e32 v46, v4, v2
.LBB4_256:                              ;   in Loop: Header=BB4_130 Depth=3
	s_or_b32 exec_lo, exec_lo, s23
                                        ; implicit-def: $vgpr2
.LBB4_257:                              ;   in Loop: Header=BB4_130 Depth=3
	s_and_not1_saveexec_b32 s8, s22
; %bb.258:                              ;   in Loop: Header=BB4_130 Depth=3
	v_or_b32_e32 v46, 0x7b, v2
; %bb.259:                              ;   in Loop: Header=BB4_130 Depth=3
	s_or_b32 exec_lo, exec_lo, s8
                                        ; implicit-def: $vgpr17
                                        ; implicit-def: $vgpr4_vgpr5
                                        ; implicit-def: $vgpr2
.LBB4_260:                              ;   in Loop: Header=BB4_130 Depth=3
	s_and_not1_saveexec_b32 s8, s21
	s_cbranch_execz .LBB4_266
; %bb.261:                              ;   in Loop: Header=BB4_130 Depth=3
	s_mov_b32 s21, exec_lo
                                        ; implicit-def: $vgpr46
	v_cmpx_ne_u64_e32 0, v[4:5]
	s_xor_b32 s21, exec_lo, s21
; %bb.262:                              ;   in Loop: Header=BB4_130 Depth=3
	v_or_b32_e32 v46, 0x7f, v2
                                        ; implicit-def: $vgpr17
; %bb.263:                              ;   in Loop: Header=BB4_130 Depth=3
	s_and_not1_saveexec_b32 s21, s21
; %bb.264:                              ;   in Loop: Header=BB4_130 Depth=3
	v_cmp_lt_i32_e32 vcc_lo, -1, v17
	v_cndmask_b32_e32 v46, 0xfc, v58, vcc_lo
; %bb.265:                              ;   in Loop: Header=BB4_130 Depth=3
	s_or_b32 exec_lo, exec_lo, s21
.LBB4_266:                              ;   in Loop: Header=BB4_130 Depth=3
	s_delay_alu instid0(SALU_CYCLE_1)
	s_or_b32 exec_lo, exec_lo, s8
	v_dual_mov_b32 v4, 0 :: v_dual_mov_b32 v5, 0
	s_mov_b32 s8, exec_lo
	v_cmpx_lt_u32_e32 0xffffff, v16
	s_cbranch_execz .LBB4_276
; %bb.267:                              ;   in Loop: Header=BB4_130 Depth=3
	v_lshrrev_b32_e32 v2, 24, v16
	v_bfrev_b32_e32 v5, 1
	s_mov_b32 s21, exec_lo
	s_delay_alu instid0(VALU_DEP_2)
	v_cmpx_ne_u32_e32 0x80, v2
	s_cbranch_execz .LBB4_275
; %bb.268:                              ;   in Loop: Header=BB4_130 Depth=3
	v_and_b32_e32 v5, 0x7c000000, v16
	v_bfe_u32 v17, v16, 24, 2
	s_delay_alu instid0(VALU_DEP_2) | instskip(SKIP_1) | instid1(SALU_CYCLE_1)
	v_cmp_ne_u32_e32 vcc_lo, 0x7c000000, v5
                                        ; implicit-def: $vgpr5
	s_and_saveexec_b32 s22, vcc_lo
	s_xor_b32 s22, exec_lo, s22
	s_cbranch_execz .LBB4_272
; %bb.269:                              ;   in Loop: Header=BB4_130 Depth=3
	v_bfe_u32 v5, v16, 26, 5
	s_mov_b32 s23, exec_lo
	s_delay_alu instid0(VALU_DEP_1)
	v_cmpx_eq_u32_e32 0, v5
; %bb.270:                              ;   in Loop: Header=BB4_130 Depth=3
	v_clz_i32_u32_e32 v5, v17
	s_delay_alu instid0(VALU_DEP_1) | instskip(NEXT) | instid1(VALU_DEP_1)
	v_min_u32_e32 v5, 32, v5
	v_subrev_nc_u32_e32 v17, 29, v5
	s_delay_alu instid0(VALU_DEP_1) | instskip(NEXT) | instid1(VALU_DEP_1)
	v_lshlrev_b64_e32 v[78:79], v17, v[2:3]
	v_dual_sub_nc_u32 v5, 30, v5 :: v_dual_bitop2_b32 v17, 3, v78 bitop3:0x40
; %bb.271:                              ;   in Loop: Header=BB4_130 Depth=3
	s_or_b32 exec_lo, exec_lo, s23
	v_and_b32_e32 v2, 0x80000000, v16
	s_delay_alu instid0(VALU_DEP_1) | instskip(NEXT) | instid1(VALU_DEP_1)
	v_lshl_add_u32 v2, v5, 23, v2
	v_lshl_or_b32 v2, v17, 21, v2
                                        ; implicit-def: $vgpr17
	s_delay_alu instid0(VALU_DEP_1)
	v_add_nc_u32_e32 v5, 0x38000000, v2
.LBB4_272:                              ;   in Loop: Header=BB4_130 Depth=3
	s_and_not1_saveexec_b32 s22, s22
; %bb.273:                              ;   in Loop: Header=BB4_130 Depth=3
	v_cmp_lt_i32_e32 vcc_lo, -1, v16
	v_cndmask_b32_e32 v2, 0xff800000, v21, vcc_lo
	v_cmp_eq_u32_e32 vcc_lo, 0, v17
	s_delay_alu instid0(VALU_DEP_2)
	v_cndmask_b32_e32 v5, 0x7f800001, v2, vcc_lo
; %bb.274:                              ;   in Loop: Header=BB4_130 Depth=3
	s_or_b32 exec_lo, exec_lo, s22
.LBB4_275:                              ;   in Loop: Header=BB4_130 Depth=3
	s_delay_alu instid0(SALU_CYCLE_1)
	s_or_b32 exec_lo, exec_lo, s21
.LBB4_276:                              ;   in Loop: Header=BB4_130 Depth=3
	s_delay_alu instid0(SALU_CYCLE_1) | instskip(NEXT) | instid1(SALU_CYCLE_1)
	s_or_b32 exec_lo, exec_lo, s8
	s_mov_b32 s8, exec_lo
	v_cmpx_lt_u32_e32 0xffffff, v54
	s_cbranch_execz .LBB4_286
; %bb.277:                              ;   in Loop: Header=BB4_130 Depth=3
	v_lshrrev_b32_e32 v2, 24, v54
	v_bfrev_b32_e32 v4, 1
	s_mov_b32 s21, exec_lo
	s_delay_alu instid0(VALU_DEP_2)
	v_cmpx_ne_u32_e32 0x80, v2
	s_cbranch_execz .LBB4_285
; %bb.278:                              ;   in Loop: Header=BB4_130 Depth=3
	v_and_b32_e32 v4, 0x7c000000, v54
	v_bfe_u32 v16, v54, 24, 2
	s_delay_alu instid0(VALU_DEP_2) | instskip(SKIP_1) | instid1(SALU_CYCLE_1)
	v_cmp_ne_u32_e32 vcc_lo, 0x7c000000, v4
                                        ; implicit-def: $vgpr4
	s_and_saveexec_b32 s22, vcc_lo
	s_xor_b32 s22, exec_lo, s22
	s_cbranch_execz .LBB4_282
; %bb.279:                              ;   in Loop: Header=BB4_130 Depth=3
	v_bfe_u32 v4, v54, 26, 5
	s_mov_b32 s23, exec_lo
	s_delay_alu instid0(VALU_DEP_1)
	v_cmpx_eq_u32_e32 0, v4
; %bb.280:                              ;   in Loop: Header=BB4_130 Depth=3
	v_clz_i32_u32_e32 v4, v16
	s_delay_alu instid0(VALU_DEP_1) | instskip(NEXT) | instid1(VALU_DEP_1)
	v_min_u32_e32 v4, 32, v4
	v_subrev_nc_u32_e32 v16, 29, v4
	v_sub_nc_u32_e32 v4, 30, v4
	s_delay_alu instid0(VALU_DEP_2) | instskip(NEXT) | instid1(VALU_DEP_1)
	v_lshlrev_b64_e32 v[16:17], v16, v[2:3]
	v_and_b32_e32 v16, 3, v16
; %bb.281:                              ;   in Loop: Header=BB4_130 Depth=3
	s_or_b32 exec_lo, exec_lo, s23
	v_and_b32_e32 v2, 0x80000000, v54
	s_delay_alu instid0(VALU_DEP_1) | instskip(NEXT) | instid1(VALU_DEP_1)
	v_lshl_add_u32 v2, v4, 23, v2
	v_lshl_or_b32 v2, v16, 21, v2
                                        ; implicit-def: $vgpr16
	s_delay_alu instid0(VALU_DEP_1)
	v_add_nc_u32_e32 v4, 0x38000000, v2
.LBB4_282:                              ;   in Loop: Header=BB4_130 Depth=3
	s_and_not1_saveexec_b32 s22, s22
; %bb.283:                              ;   in Loop: Header=BB4_130 Depth=3
	v_cmp_lt_i32_e32 vcc_lo, -1, v54
	v_cndmask_b32_e32 v2, 0xff800000, v21, vcc_lo
	v_cmp_eq_u32_e32 vcc_lo, 0, v16
	s_delay_alu instid0(VALU_DEP_2)
	v_cndmask_b32_e32 v4, 0x7f800001, v2, vcc_lo
; %bb.284:                              ;   in Loop: Header=BB4_130 Depth=3
	s_or_b32 exec_lo, exec_lo, s22
.LBB4_285:                              ;   in Loop: Header=BB4_130 Depth=3
	s_delay_alu instid0(SALU_CYCLE_1)
	s_or_b32 exec_lo, exec_lo, s21
.LBB4_286:                              ;   in Loop: Header=BB4_130 Depth=3
	s_delay_alu instid0(SALU_CYCLE_1) | instskip(NEXT) | instid1(VALU_DEP_1)
	s_or_b32 exec_lo, exec_lo, s8
	v_dual_mul_f32 v4, v5, v4 :: v_dual_mov_b32 v17, v55
                                        ; implicit-def: $vgpr47
	s_mov_b32 s8, exec_lo
	s_delay_alu instid0(VALU_DEP_1) | instskip(SKIP_2) | instid1(VALU_DEP_3)
	v_and_b32_e32 v16, 0x7f800000, v4
	v_and_b32_e32 v54, 0x7fffff, v4
	v_lshrrev_b32_e32 v2, 24, v4
	v_cmpx_ne_u64_e32 0x7f800000, v[16:17]
	s_xor_b32 s21, exec_lo, s8
	s_cbranch_execz .LBB4_300
; %bb.287:                              ;   in Loop: Header=BB4_130 Depth=3
	v_and_b32_e32 v16, 0x7fffffff, v4
	v_mov_b32_e32 v17, v55
	v_and_b32_e32 v2, 0x80, v2
                                        ; implicit-def: $vgpr47
	s_mov_b32 s8, exec_lo
	s_delay_alu instid0(VALU_DEP_2)
	v_cmpx_gt_u64_e32 0x47600001, v[16:17]
	s_xor_b32 s22, exec_lo, s8
	s_cbranch_execz .LBB4_297
; %bb.288:                              ;   in Loop: Header=BB4_130 Depth=3
	v_mov_b32_e32 v47, 0
	s_mov_b32 s23, exec_lo
	v_cmpx_ne_u32_e32 0, v4
	s_cbranch_execz .LBB4_296
; %bb.289:                              ;   in Loop: Header=BB4_130 Depth=3
	v_bfe_u32 v47, v4, 23, 8
	v_or_b32_e32 v16, 0x800000, v54
	s_delay_alu instid0(VALU_DEP_2) | instskip(SKIP_1) | instid1(VALU_DEP_2)
	v_sub_nc_u32_e32 v4, 0x71, v47
	v_cmp_gt_u32_e32 vcc_lo, 0x72, v47
	v_cndmask_b32_e32 v4, 0, v4, vcc_lo
	v_cmp_eq_u32_e32 vcc_lo, 0, v47
	s_delay_alu instid0(VALU_DEP_2) | instskip(NEXT) | instid1(VALU_DEP_1)
	v_cndmask_b32_e64 v77, v4, 0x70, vcc_lo
	v_dual_cndmask_b32 v54, v16, v54, vcc_lo :: v_dual_add_nc_u32 v4, 21, v77
	v_add_nc_u32_e32 v17, 20, v77
	s_delay_alu instid0(VALU_DEP_2) | instskip(NEXT) | instid1(VALU_DEP_2)
	v_lshlrev_b64_e64 v[4:5], v4, -1
	v_lshlrev_b64_e64 v[16:17], v17, 1
	s_delay_alu instid0(VALU_DEP_2) | instskip(NEXT) | instid1(VALU_DEP_3)
	v_bfi_b32 v79, v5, 0, 0
	v_bfi_b32 v78, v4, 0, v54
	v_lshrrev_b64 v[4:5], v77, v[54:55]
	s_delay_alu instid0(VALU_DEP_2) | instskip(NEXT) | instid1(VALU_DEP_2)
	v_cmp_eq_u64_e64 s8, v[78:79], v[16:17]
	v_mov_b64_e32 v[16:17], v[4:5]
	s_and_saveexec_b32 s24, s8
; %bb.290:                              ;   in Loop: Header=BB4_130 Depth=3
	v_bfe_u32 v54, v4, 21, 1
	s_delay_alu instid0(VALU_DEP_1) | instskip(NEXT) | instid1(VALU_DEP_1)
	v_add_nc_u64_e32 v[16:17], v[4:5], v[54:55]
	v_add_nc_u64_e32 v[16:17], -1, v[16:17]
; %bb.291:                              ;   in Loop: Header=BB4_130 Depth=3
	s_or_b32 exec_lo, exec_lo, s24
	v_add_nc_u32_e32 v5, 0xffffff81, v47
	v_lshrrev_b32_e32 v17, 23, v4
	s_mov_b32 s8, exec_lo
	s_delay_alu instid0(VALU_DEP_2) | instskip(NEXT) | instid1(VALU_DEP_1)
	v_cndmask_b32_e64 v5, v5, 0xffffff82, vcc_lo
	v_add3_u32 v17, v77, v5, v17
	v_and_b32_e32 v5, 0x1fffff, v16
                                        ; implicit-def: $vgpr16
	s_delay_alu instid0(VALU_DEP_1) | instskip(NEXT) | instid1(VALU_DEP_1)
	v_dual_add_nc_u32 v47, 14, v17 :: v_dual_add_nc_u32 v54, v5, v4
                                        ; implicit-def: $vgpr4_vgpr5
	v_cmpx_ne_u32_e32 0, v47
	s_xor_b32 s8, exec_lo, s8
; %bb.292:                              ;   in Loop: Header=BB4_130 Depth=3
	s_delay_alu instid0(VALU_DEP_2) | instskip(SKIP_1) | instid1(VALU_DEP_1)
	v_cmp_lt_u64_e32 vcc_lo, 0xffffff, v[54:55]
	v_add_nc_u32_e32 v4, 15, v17
	v_cndmask_b32_e32 v16, v47, v4, vcc_lo
	v_cndmask_b32_e64 v4, 0, 1, vcc_lo
	s_delay_alu instid0(VALU_DEP_1)
	v_lshrrev_b64 v[4:5], v4, v[54:55]
; %bb.293:                              ;   in Loop: Header=BB4_130 Depth=3
	s_and_not1_saveexec_b32 s8, s8
; %bb.294:                              ;   in Loop: Header=BB4_130 Depth=3
	v_mov_b64_e32 v[4:5], v[54:55]
	v_bfe_u32 v16, v54, 23, 1
; %bb.295:                              ;   in Loop: Header=BB4_130 Depth=3
	s_or_b32 exec_lo, exec_lo, s8
	s_delay_alu instid0(VALU_DEP_2) | instskip(NEXT) | instid1(VALU_DEP_2)
	v_lshrrev_b64 v[4:5], 21, v[4:5]
	v_cmp_gt_i32_e32 vcc_lo, 32, v16
	v_min_i32_e32 v17, 31, v16
	v_cmp_eq_u32_e64 s8, 0, v16
	s_delay_alu instid0(VALU_DEP_4) | instskip(NEXT) | instid1(VALU_DEP_3)
	v_cndmask_b32_e32 v5, 0, v5, vcc_lo
	v_dual_cndmask_b32 v4, 3, v4 :: v_dual_lshlrev_b32 v17, 2, v17
	s_delay_alu instid0(VALU_DEP_1) | instskip(NEXT) | instid1(VALU_DEP_2)
	v_and_b32_e32 v17, 0xfc, v17
	v_cmp_eq_u64_e32 vcc_lo, 0, v[4:5]
	s_delay_alu instid0(VALU_DEP_2)
	v_and_or_b32 v4, v4, 3, v17
	s_and_b32 s8, s8, vcc_lo
	s_delay_alu instid0(VALU_DEP_1) | instid1(SALU_CYCLE_1)
	v_cndmask_b32_e64 v4, v4, 0, s8
	s_delay_alu instid0(VALU_DEP_1)
	v_or_b32_e32 v47, v4, v2
.LBB4_296:                              ;   in Loop: Header=BB4_130 Depth=3
	s_or_b32 exec_lo, exec_lo, s23
                                        ; implicit-def: $vgpr2
.LBB4_297:                              ;   in Loop: Header=BB4_130 Depth=3
	s_and_not1_saveexec_b32 s8, s22
; %bb.298:                              ;   in Loop: Header=BB4_130 Depth=3
	v_or_b32_e32 v47, 0x7b, v2
; %bb.299:                              ;   in Loop: Header=BB4_130 Depth=3
	s_or_b32 exec_lo, exec_lo, s8
                                        ; implicit-def: $vgpr4
                                        ; implicit-def: $vgpr2
.LBB4_300:                              ;   in Loop: Header=BB4_130 Depth=3
	s_and_not1_saveexec_b32 s8, s21
	s_cbranch_execz .LBB4_306
; %bb.301:                              ;   in Loop: Header=BB4_130 Depth=3
	s_mov_b32 s21, exec_lo
                                        ; implicit-def: $vgpr47
	v_cmpx_ne_u64_e32 0, v[54:55]
	s_xor_b32 s21, exec_lo, s21
; %bb.302:                              ;   in Loop: Header=BB4_130 Depth=3
	v_or_b32_e32 v47, 0x7f, v2
                                        ; implicit-def: $vgpr4
; %bb.303:                              ;   in Loop: Header=BB4_130 Depth=3
	s_and_not1_saveexec_b32 s21, s21
; %bb.304:                              ;   in Loop: Header=BB4_130 Depth=3
	v_cmp_lt_i32_e32 vcc_lo, -1, v4
	v_cndmask_b32_e32 v47, 0xfc, v58, vcc_lo
; %bb.305:                              ;   in Loop: Header=BB4_130 Depth=3
	s_or_b32 exec_lo, exec_lo, s21
.LBB4_306:                              ;   in Loop: Header=BB4_130 Depth=3
	s_delay_alu instid0(SALU_CYCLE_1) | instskip(SKIP_2) | instid1(VALU_DEP_2)
	s_or_b32 exec_lo, exec_lo, s8
	v_and_b32_e32 v4, 0xff, v18
	v_mov_b32_e32 v2, 0
	v_cmp_ne_u16_e32 vcc_lo, 0, v4
	v_mov_b32_e32 v4, 0
	s_and_saveexec_b32 s8, vcc_lo
	s_cbranch_execz .LBB4_316
; %bb.307:                              ;   in Loop: Header=BB4_130 Depth=3
	v_bfe_i32 v16, v18, 0, 8
	v_bfrev_b32_e32 v4, 1
	s_mov_b32 s21, exec_lo
	s_delay_alu instid0(VALU_DEP_2)
	v_cmpx_ne_u16_e32 0xff80, v16
	s_cbranch_execz .LBB4_315
; %bb.308:                              ;   in Loop: Header=BB4_130 Depth=3
	v_and_b32_e32 v4, 0x7c, v18
	v_and_b32_e32 v5, 3, v18
	s_delay_alu instid0(VALU_DEP_2) | instskip(SKIP_1) | instid1(SALU_CYCLE_1)
	v_cmp_ne_u32_e32 vcc_lo, 0x7c, v4
                                        ; implicit-def: $vgpr4
	s_and_saveexec_b32 s22, vcc_lo
	s_xor_b32 s22, exec_lo, s22
	s_cbranch_execz .LBB4_312
; %bb.309:                              ;   in Loop: Header=BB4_130 Depth=3
	v_bfe_u32 v4, v18, 2, 5
	s_mov_b32 s23, exec_lo
	s_delay_alu instid0(VALU_DEP_1)
	v_cmpx_eq_u32_e32 0, v4
; %bb.310:                              ;   in Loop: Header=BB4_130 Depth=3
	v_clz_i32_u32_e32 v4, v5
	s_delay_alu instid0(VALU_DEP_1) | instskip(NEXT) | instid1(VALU_DEP_1)
	v_min_u32_e32 v4, 32, v4
	v_subrev_nc_u32_e32 v5, 29, v4
	v_sub_nc_u32_e32 v4, 30, v4
	s_delay_alu instid0(VALU_DEP_2) | instskip(NEXT) | instid1(VALU_DEP_1)
	v_lshlrev_b64_e32 v[16:17], v5, v[18:19]
	v_and_b32_e32 v5, 3, v16
; %bb.311:                              ;   in Loop: Header=BB4_130 Depth=3
	s_or_b32 exec_lo, exec_lo, s23
	v_lshlrev_b32_e32 v16, 24, v18
	s_delay_alu instid0(VALU_DEP_1) | instskip(NEXT) | instid1(VALU_DEP_1)
	v_and_b32_e32 v16, 0x80000000, v16
	v_lshl_add_u32 v4, v4, 23, v16
                                        ; implicit-def: $vgpr16
	s_delay_alu instid0(VALU_DEP_1) | instskip(NEXT) | instid1(VALU_DEP_1)
	v_lshl_or_b32 v4, v5, 21, v4
                                        ; implicit-def: $vgpr5
	v_add_nc_u32_e32 v4, 0x38000000, v4
.LBB4_312:                              ;   in Loop: Header=BB4_130 Depth=3
	s_and_not1_saveexec_b32 s22, s22
; %bb.313:                              ;   in Loop: Header=BB4_130 Depth=3
	v_cmp_lt_i16_e32 vcc_lo, -1, v16
	v_cndmask_b32_e32 v4, 0xff800000, v21, vcc_lo
	v_cmp_eq_u32_e32 vcc_lo, 0, v5
	s_delay_alu instid0(VALU_DEP_2)
	v_cndmask_b32_e32 v4, 0x7f800001, v4, vcc_lo
; %bb.314:                              ;   in Loop: Header=BB4_130 Depth=3
	s_or_b32 exec_lo, exec_lo, s22
.LBB4_315:                              ;   in Loop: Header=BB4_130 Depth=3
	s_delay_alu instid0(SALU_CYCLE_1)
	s_or_b32 exec_lo, exec_lo, s21
.LBB4_316:                              ;   in Loop: Header=BB4_130 Depth=3
	s_delay_alu instid0(SALU_CYCLE_1) | instskip(SKIP_2) | instid1(VALU_DEP_1)
	s_or_b32 exec_lo, exec_lo, s8
	v_alignbit_b32 v54, v74, v75, v76
	s_mov_b32 s8, exec_lo
	v_and_b32_e32 v5, 0xff, v54
	s_delay_alu instid0(VALU_DEP_1)
	v_cmpx_ne_u16_e32 0, v5
	s_cbranch_execz .LBB4_326
; %bb.317:                              ;   in Loop: Header=BB4_130 Depth=3
	v_bfe_i32 v16, v54, 0, 8
	v_bfrev_b32_e32 v2, 1
	s_mov_b32 s21, exec_lo
	s_delay_alu instid0(VALU_DEP_2)
	v_cmpx_ne_u16_e32 0xff80, v16
	s_cbranch_execz .LBB4_325
; %bb.318:                              ;   in Loop: Header=BB4_130 Depth=3
	v_and_b32_e32 v2, 0x7c, v54
	v_and_b32_e32 v5, 3, v54
	s_delay_alu instid0(VALU_DEP_2) | instskip(SKIP_1) | instid1(SALU_CYCLE_1)
	v_cmp_ne_u32_e32 vcc_lo, 0x7c, v2
                                        ; implicit-def: $vgpr2
	s_and_saveexec_b32 s22, vcc_lo
	s_xor_b32 s22, exec_lo, s22
	s_cbranch_execz .LBB4_322
; %bb.319:                              ;   in Loop: Header=BB4_130 Depth=3
	v_bfe_u32 v2, v54, 2, 5
	s_mov_b32 s23, exec_lo
	s_delay_alu instid0(VALU_DEP_1)
	v_cmpx_eq_u32_e32 0, v2
; %bb.320:                              ;   in Loop: Header=BB4_130 Depth=3
	v_clz_i32_u32_e32 v2, v5
	s_delay_alu instid0(VALU_DEP_1) | instskip(NEXT) | instid1(VALU_DEP_1)
	v_min_u32_e32 v2, 32, v2
	v_subrev_nc_u32_e32 v5, 29, v2
	s_delay_alu instid0(VALU_DEP_1) | instskip(NEXT) | instid1(VALU_DEP_1)
	v_lshlrev_b64_e32 v[16:17], v5, v[54:55]
	v_dual_sub_nc_u32 v2, 30, v2 :: v_dual_bitop2_b32 v5, 3, v16 bitop3:0x40
; %bb.321:                              ;   in Loop: Header=BB4_130 Depth=3
	s_or_b32 exec_lo, exec_lo, s23
	v_lshlrev_b32_e32 v16, 24, v54
	s_delay_alu instid0(VALU_DEP_1) | instskip(NEXT) | instid1(VALU_DEP_1)
	v_and_b32_e32 v16, 0x80000000, v16
	v_lshl_add_u32 v2, v2, 23, v16
                                        ; implicit-def: $vgpr16
	s_delay_alu instid0(VALU_DEP_1) | instskip(NEXT) | instid1(VALU_DEP_1)
	v_lshl_or_b32 v2, v5, 21, v2
                                        ; implicit-def: $vgpr5
	v_add_nc_u32_e32 v2, 0x38000000, v2
.LBB4_322:                              ;   in Loop: Header=BB4_130 Depth=3
	s_and_not1_saveexec_b32 s22, s22
; %bb.323:                              ;   in Loop: Header=BB4_130 Depth=3
	v_cmp_lt_i16_e32 vcc_lo, -1, v16
	v_cndmask_b32_e32 v2, 0xff800000, v21, vcc_lo
	v_cmp_eq_u32_e32 vcc_lo, 0, v5
	s_delay_alu instid0(VALU_DEP_2)
	v_cndmask_b32_e32 v2, 0x7f800001, v2, vcc_lo
; %bb.324:                              ;   in Loop: Header=BB4_130 Depth=3
	s_or_b32 exec_lo, exec_lo, s22
.LBB4_325:                              ;   in Loop: Header=BB4_130 Depth=3
	s_delay_alu instid0(SALU_CYCLE_1)
	s_or_b32 exec_lo, exec_lo, s21
.LBB4_326:                              ;   in Loop: Header=BB4_130 Depth=3
	s_delay_alu instid0(SALU_CYCLE_1) | instskip(NEXT) | instid1(VALU_DEP_1)
	s_or_b32 exec_lo, exec_lo, s8
	v_dual_mul_f32 v16, v4, v2 :: v_dual_mov_b32 v75, v55
	v_mov_b32_e32 v5, v55
                                        ; implicit-def: $vgpr19
	s_mov_b32 s8, exec_lo
	s_delay_alu instid0(VALU_DEP_2) | instskip(SKIP_2) | instid1(VALU_DEP_3)
	v_and_b32_e32 v74, 0x7f800000, v16
	v_and_b32_e32 v4, 0x7fffff, v16
	v_lshrrev_b32_e32 v2, 24, v16
	v_cmpx_ne_u64_e32 0x7f800000, v[74:75]
	s_xor_b32 s21, exec_lo, s8
	s_cbranch_execz .LBB4_340
; %bb.327:                              ;   in Loop: Header=BB4_130 Depth=3
	v_and_b32_e32 v74, 0x7fffffff, v16
	v_mov_b32_e32 v75, v55
	v_and_b32_e32 v2, 0x80, v2
                                        ; implicit-def: $vgpr19
	s_mov_b32 s8, exec_lo
	s_delay_alu instid0(VALU_DEP_2)
	v_cmpx_gt_u64_e32 0x47600001, v[74:75]
	s_xor_b32 s22, exec_lo, s8
	s_cbranch_execz .LBB4_337
; %bb.328:                              ;   in Loop: Header=BB4_130 Depth=3
	v_mov_b32_e32 v19, 0
	s_mov_b32 s23, exec_lo
	v_cmpx_ne_u32_e32 0, v16
	s_cbranch_execz .LBB4_336
; %bb.329:                              ;   in Loop: Header=BB4_130 Depth=3
	v_bfe_u32 v19, v16, 23, 8
	v_or_b32_e32 v75, 0x800000, v4
	s_delay_alu instid0(VALU_DEP_2) | instskip(SKIP_1) | instid1(VALU_DEP_2)
	v_sub_nc_u32_e32 v16, 0x71, v19
	v_cmp_gt_u32_e32 vcc_lo, 0x72, v19
	v_cndmask_b32_e32 v16, 0, v16, vcc_lo
	v_cmp_eq_u32_e32 vcc_lo, 0, v19
	s_delay_alu instid0(VALU_DEP_2) | instskip(NEXT) | instid1(VALU_DEP_1)
	v_cndmask_b32_e64 v74, v16, 0x70, vcc_lo
	v_dual_cndmask_b32 v4, v75, v4, vcc_lo :: v_dual_add_nc_u32 v16, 21, v74
	v_add_nc_u32_e32 v76, 20, v74
	s_delay_alu instid0(VALU_DEP_2) | instskip(NEXT) | instid1(VALU_DEP_2)
	v_lshlrev_b64_e64 v[16:17], v16, -1
	v_lshlrev_b64_e64 v[76:77], v76, 1
	s_delay_alu instid0(VALU_DEP_2) | instskip(SKIP_1) | instid1(VALU_DEP_4)
	v_bfi_b32 v16, v16, 0, v4
	v_lshrrev_b64 v[4:5], v74, v[4:5]
	v_bfi_b32 v17, v17, 0, 0
	s_delay_alu instid0(VALU_DEP_1) | instskip(NEXT) | instid1(VALU_DEP_3)
	v_cmp_eq_u64_e64 s8, v[16:17], v[76:77]
	v_mov_b64_e32 v[16:17], v[4:5]
	s_and_saveexec_b32 s24, s8
; %bb.330:                              ;   in Loop: Header=BB4_130 Depth=3
	v_bfe_u32 v16, v4, 21, 1
	v_mov_b32_e32 v17, v55
	s_delay_alu instid0(VALU_DEP_1) | instskip(NEXT) | instid1(VALU_DEP_1)
	v_add_nc_u64_e32 v[16:17], v[4:5], v[16:17]
	v_add_nc_u64_e32 v[16:17], -1, v[16:17]
; %bb.331:                              ;   in Loop: Header=BB4_130 Depth=3
	s_or_b32 exec_lo, exec_lo, s24
	v_add_nc_u32_e32 v5, 0xffffff81, v19
	v_lshrrev_b32_e32 v17, 23, v4
	s_mov_b32 s8, exec_lo
	s_delay_alu instid0(VALU_DEP_2) | instskip(NEXT) | instid1(VALU_DEP_1)
	v_cndmask_b32_e64 v5, v5, 0xffffff82, vcc_lo
	v_add3_u32 v17, v74, v5, v17
	v_and_b32_e32 v5, 0x1fffff, v16
                                        ; implicit-def: $vgpr16
	s_delay_alu instid0(VALU_DEP_1) | instskip(SKIP_1) | instid1(VALU_DEP_2)
	v_dual_add_nc_u32 v19, 14, v17 :: v_dual_add_nc_u32 v4, v5, v4
	v_mov_b32_e32 v5, v55
	v_cmpx_ne_u32_e32 0, v19
	s_xor_b32 s8, exec_lo, s8
; %bb.332:                              ;   in Loop: Header=BB4_130 Depth=3
	s_delay_alu instid0(VALU_DEP_2) | instskip(SKIP_2) | instid1(VALU_DEP_2)
	v_cmp_lt_u64_e32 vcc_lo, 0xffffff, v[4:5]
	v_add_nc_u32_e32 v16, 15, v17
	v_cndmask_b32_e64 v17, 0, 1, vcc_lo
	v_cndmask_b32_e32 v16, v19, v16, vcc_lo
	s_delay_alu instid0(VALU_DEP_2)
	v_lshrrev_b64 v[4:5], v17, v[4:5]
; %bb.333:                              ;   in Loop: Header=BB4_130 Depth=3
	s_and_not1_saveexec_b32 s8, s8
; %bb.334:                              ;   in Loop: Header=BB4_130 Depth=3
	s_delay_alu instid0(VALU_DEP_1)
	v_bfe_u32 v16, v4, 23, 1
; %bb.335:                              ;   in Loop: Header=BB4_130 Depth=3
	s_or_b32 exec_lo, exec_lo, s8
	s_delay_alu instid0(VALU_DEP_2) | instskip(NEXT) | instid1(VALU_DEP_2)
	v_lshrrev_b64 v[4:5], 21, v[4:5]
	v_cmp_gt_i32_e32 vcc_lo, 32, v16
	v_min_i32_e32 v17, 31, v16
	v_cmp_eq_u32_e64 s8, 0, v16
	s_delay_alu instid0(VALU_DEP_4) | instskip(NEXT) | instid1(VALU_DEP_3)
	v_cndmask_b32_e32 v5, 0, v5, vcc_lo
	v_dual_cndmask_b32 v4, 3, v4 :: v_dual_lshlrev_b32 v17, 2, v17
	s_delay_alu instid0(VALU_DEP_1) | instskip(NEXT) | instid1(VALU_DEP_2)
	v_and_b32_e32 v17, 0xfc, v17
	v_cmp_eq_u64_e32 vcc_lo, 0, v[4:5]
	s_delay_alu instid0(VALU_DEP_2)
	v_and_or_b32 v4, v4, 3, v17
	s_and_b32 s8, s8, vcc_lo
	s_delay_alu instid0(VALU_DEP_1) | instid1(SALU_CYCLE_1)
	v_cndmask_b32_e64 v4, v4, 0, s8
	s_delay_alu instid0(VALU_DEP_1)
	v_or_b32_e32 v19, v4, v2
.LBB4_336:                              ;   in Loop: Header=BB4_130 Depth=3
	s_or_b32 exec_lo, exec_lo, s23
                                        ; implicit-def: $vgpr2
.LBB4_337:                              ;   in Loop: Header=BB4_130 Depth=3
	s_and_not1_saveexec_b32 s8, s22
; %bb.338:                              ;   in Loop: Header=BB4_130 Depth=3
	v_or_b32_e32 v19, 0x7b, v2
; %bb.339:                              ;   in Loop: Header=BB4_130 Depth=3
	s_or_b32 exec_lo, exec_lo, s8
                                        ; implicit-def: $vgpr16
                                        ; implicit-def: $vgpr4_vgpr5
                                        ; implicit-def: $vgpr2
.LBB4_340:                              ;   in Loop: Header=BB4_130 Depth=3
	s_and_not1_saveexec_b32 s8, s21
	s_cbranch_execz .LBB4_346
; %bb.341:                              ;   in Loop: Header=BB4_130 Depth=3
	s_mov_b32 s21, exec_lo
                                        ; implicit-def: $vgpr19
	v_cmpx_ne_u64_e32 0, v[4:5]
	s_xor_b32 s21, exec_lo, s21
; %bb.342:                              ;   in Loop: Header=BB4_130 Depth=3
	v_or_b32_e32 v19, 0x7f, v2
                                        ; implicit-def: $vgpr16
; %bb.343:                              ;   in Loop: Header=BB4_130 Depth=3
	s_and_not1_saveexec_b32 s21, s21
; %bb.344:                              ;   in Loop: Header=BB4_130 Depth=3
	v_cmp_lt_i32_e32 vcc_lo, -1, v16
	v_cndmask_b32_e32 v19, 0xfc, v58, vcc_lo
; %bb.345:                              ;   in Loop: Header=BB4_130 Depth=3
	s_or_b32 exec_lo, exec_lo, s21
.LBB4_346:                              ;   in Loop: Header=BB4_130 Depth=3
	s_delay_alu instid0(SALU_CYCLE_1) | instskip(SKIP_3) | instid1(VALU_DEP_2)
	s_or_b32 exec_lo, exec_lo, s8
	v_lshrrev_b16 v4, 8, v18
	v_dual_mov_b32 v2, 0 :: v_dual_mov_b32 v16, 0
	s_mov_b32 s8, exec_lo
	v_cmpx_ne_u16_e32 0, v4
	s_cbranch_execz .LBB4_356
; %bb.347:                              ;   in Loop: Header=BB4_130 Depth=3
	v_bfrev_b32_e32 v16, 1
	s_mov_b32 s21, exec_lo
	v_cmpx_ne_u16_e32 0x80, v4
	s_cbranch_execz .LBB4_355
; %bb.348:                              ;   in Loop: Header=BB4_130 Depth=3
	v_and_b32_e32 v17, 0xffff, v4
	s_delay_alu instid0(VALU_DEP_1) | instskip(SKIP_1) | instid1(VALU_DEP_2)
	v_and_b32_e32 v16, 0x7c, v17
	v_and_b32_e32 v5, 3, v17
	v_cmp_ne_u32_e32 vcc_lo, 0x7c, v16
                                        ; implicit-def: $vgpr16
	s_and_saveexec_b32 s22, vcc_lo
	s_delay_alu instid0(SALU_CYCLE_1)
	s_xor_b32 s22, exec_lo, s22
	s_cbranch_execz .LBB4_352
; %bb.349:                              ;   in Loop: Header=BB4_130 Depth=3
	v_bfe_u32 v16, v17, 2, 5
	s_mov_b32 s23, exec_lo
	s_delay_alu instid0(VALU_DEP_1)
	v_cmpx_eq_u32_e32 0, v16
	s_cbranch_execz .LBB4_351
; %bb.350:                              ;   in Loop: Header=BB4_130 Depth=3
	v_clz_i32_u32_e32 v5, v5
	s_delay_alu instid0(VALU_DEP_1) | instskip(SKIP_1) | instid1(VALU_DEP_2)
	v_min_u32_e32 v16, 32, v5
	v_mov_b32_e32 v5, v55
	v_subrev_nc_u32_e32 v17, 29, v16
	v_sub_nc_u32_e32 v16, 30, v16
	s_delay_alu instid0(VALU_DEP_2) | instskip(NEXT) | instid1(VALU_DEP_1)
	v_lshlrev_b64_e32 v[4:5], v17, v[4:5]
	v_and_b32_e32 v5, 3, v4
.LBB4_351:                              ;   in Loop: Header=BB4_130 Depth=3
	s_or_b32 exec_lo, exec_lo, s23
	v_lshlrev_b32_e32 v4, 16, v18
	s_delay_alu instid0(VALU_DEP_1) | instskip(NEXT) | instid1(VALU_DEP_1)
	v_and_b32_e32 v4, 0x80000000, v4
	v_lshl_add_u32 v4, v16, 23, v4
	s_delay_alu instid0(VALU_DEP_1) | instskip(NEXT) | instid1(VALU_DEP_1)
	v_lshl_or_b32 v4, v5, 21, v4
                                        ; implicit-def: $vgpr5
	v_add_nc_u32_e32 v16, 0x38000000, v4
.LBB4_352:                              ;   in Loop: Header=BB4_130 Depth=3
	s_and_not1_saveexec_b32 s22, s22
; %bb.353:                              ;   in Loop: Header=BB4_130 Depth=3
	v_cmp_lt_i16_e32 vcc_lo, -1, v18
	v_cndmask_b32_e32 v4, 0xff800000, v21, vcc_lo
	v_cmp_eq_u32_e32 vcc_lo, 0, v5
	s_delay_alu instid0(VALU_DEP_2)
	v_cndmask_b32_e32 v16, 0x7f800001, v4, vcc_lo
; %bb.354:                              ;   in Loop: Header=BB4_130 Depth=3
	s_or_b32 exec_lo, exec_lo, s22
.LBB4_355:                              ;   in Loop: Header=BB4_130 Depth=3
	s_delay_alu instid0(SALU_CYCLE_1)
	s_or_b32 exec_lo, exec_lo, s21
.LBB4_356:                              ;   in Loop: Header=BB4_130 Depth=3
	s_delay_alu instid0(SALU_CYCLE_1) | instskip(SKIP_2) | instid1(VALU_DEP_1)
	s_or_b32 exec_lo, exec_lo, s8
	v_lshrrev_b16 v4, 8, v54
	s_mov_b32 s8, exec_lo
	v_cmpx_ne_u16_e32 0, v4
	s_cbranch_execz .LBB4_366
; %bb.357:                              ;   in Loop: Header=BB4_130 Depth=3
	v_bfrev_b32_e32 v2, 1
	s_mov_b32 s21, exec_lo
	v_cmpx_ne_u16_e32 0x80, v4
	s_cbranch_execz .LBB4_365
; %bb.358:                              ;   in Loop: Header=BB4_130 Depth=3
	v_and_b32_e32 v17, 0xffff, v4
	s_delay_alu instid0(VALU_DEP_1) | instskip(SKIP_1) | instid1(VALU_DEP_2)
	v_and_b32_e32 v2, 0x7c, v17
	v_and_b32_e32 v5, 3, v17
	v_cmp_ne_u32_e32 vcc_lo, 0x7c, v2
                                        ; implicit-def: $vgpr2
	s_and_saveexec_b32 s22, vcc_lo
	s_delay_alu instid0(SALU_CYCLE_1)
	s_xor_b32 s22, exec_lo, s22
	s_cbranch_execz .LBB4_362
; %bb.359:                              ;   in Loop: Header=BB4_130 Depth=3
	v_bfe_u32 v2, v17, 2, 5
	s_mov_b32 s23, exec_lo
	s_delay_alu instid0(VALU_DEP_1)
	v_cmpx_eq_u32_e32 0, v2
	s_cbranch_execz .LBB4_361
; %bb.360:                              ;   in Loop: Header=BB4_130 Depth=3
	v_clz_i32_u32_e32 v2, v5
	s_delay_alu instid0(VALU_DEP_1) | instskip(SKIP_1) | instid1(VALU_DEP_2)
	v_min_u32_e32 v2, 32, v2
	v_mov_b32_e32 v5, v55
	v_subrev_nc_u32_e32 v17, 29, v2
	v_sub_nc_u32_e32 v2, 30, v2
	s_delay_alu instid0(VALU_DEP_2) | instskip(NEXT) | instid1(VALU_DEP_1)
	v_lshlrev_b64_e32 v[4:5], v17, v[4:5]
	v_and_b32_e32 v5, 3, v4
.LBB4_361:                              ;   in Loop: Header=BB4_130 Depth=3
	s_or_b32 exec_lo, exec_lo, s23
	v_lshlrev_b32_e32 v4, 16, v54
	s_delay_alu instid0(VALU_DEP_1) | instskip(NEXT) | instid1(VALU_DEP_1)
	v_and_b32_e32 v4, 0x80000000, v4
	v_lshl_add_u32 v2, v2, 23, v4
	s_delay_alu instid0(VALU_DEP_1) | instskip(NEXT) | instid1(VALU_DEP_1)
	v_lshl_or_b32 v2, v5, 21, v2
                                        ; implicit-def: $vgpr5
	v_add_nc_u32_e32 v2, 0x38000000, v2
.LBB4_362:                              ;   in Loop: Header=BB4_130 Depth=3
	s_and_not1_saveexec_b32 s22, s22
; %bb.363:                              ;   in Loop: Header=BB4_130 Depth=3
	v_cmp_lt_i16_e32 vcc_lo, -1, v54
	v_cndmask_b32_e32 v2, 0xff800000, v21, vcc_lo
	v_cmp_eq_u32_e32 vcc_lo, 0, v5
	s_delay_alu instid0(VALU_DEP_2)
	v_cndmask_b32_e32 v2, 0x7f800001, v2, vcc_lo
; %bb.364:                              ;   in Loop: Header=BB4_130 Depth=3
	s_or_b32 exec_lo, exec_lo, s22
.LBB4_365:                              ;   in Loop: Header=BB4_130 Depth=3
	s_delay_alu instid0(SALU_CYCLE_1)
	s_or_b32 exec_lo, exec_lo, s21
.LBB4_366:                              ;   in Loop: Header=BB4_130 Depth=3
	s_delay_alu instid0(SALU_CYCLE_1) | instskip(NEXT) | instid1(VALU_DEP_1)
	s_or_b32 exec_lo, exec_lo, s8
	v_dual_mul_f32 v16, v16, v2 :: v_dual_mov_b32 v75, v55
	s_delay_alu instid0(VALU_DEP_1) | instskip(SKIP_2) | instid1(VALU_DEP_2)
	v_dual_mov_b32 v5, v55 :: v_dual_lshrrev_b32 v2, 24, v16
	v_and_b32_e32 v74, 0x7f800000, v16
	v_and_b32_e32 v4, 0x7fffff, v16
	v_cmp_ne_u64_e32 vcc_lo, 0x7f800000, v[74:75]
                                        ; implicit-def: $vgpr74
	s_and_saveexec_b32 s8, vcc_lo
	s_delay_alu instid0(SALU_CYCLE_1)
	s_xor_b32 s21, exec_lo, s8
	s_cbranch_execz .LBB4_380
; %bb.367:                              ;   in Loop: Header=BB4_130 Depth=3
	v_and_b32_e32 v74, 0x7fffffff, v16
	v_mov_b32_e32 v75, v55
	v_and_b32_e32 v2, 0x80, v2
	s_delay_alu instid0(VALU_DEP_2) | instskip(SKIP_1) | instid1(SALU_CYCLE_1)
	v_cmp_gt_u64_e32 vcc_lo, 0x47600001, v[74:75]
                                        ; implicit-def: $vgpr74
	s_and_saveexec_b32 s8, vcc_lo
	s_xor_b32 s22, exec_lo, s8
	s_cbranch_execz .LBB4_377
; %bb.368:                              ;   in Loop: Header=BB4_130 Depth=3
	v_mov_b32_e32 v74, 0
	s_mov_b32 s23, exec_lo
	v_cmpx_ne_u32_e32 0, v16
	s_cbranch_execz .LBB4_376
; %bb.369:                              ;   in Loop: Header=BB4_130 Depth=3
	v_bfe_u32 v74, v16, 23, 8
	v_or_b32_e32 v76, 0x800000, v4
	s_delay_alu instid0(VALU_DEP_2) | instskip(SKIP_1) | instid1(VALU_DEP_2)
	v_sub_nc_u32_e32 v16, 0x71, v74
	v_cmp_gt_u32_e32 vcc_lo, 0x72, v74
	v_cndmask_b32_e32 v16, 0, v16, vcc_lo
	v_cmp_eq_u32_e32 vcc_lo, 0, v74
	s_delay_alu instid0(VALU_DEP_2) | instskip(NEXT) | instid1(VALU_DEP_1)
	v_cndmask_b32_e64 v75, v16, 0x70, vcc_lo
	v_dual_cndmask_b32 v4, v76, v4, vcc_lo :: v_dual_add_nc_u32 v16, 21, v75
	v_add_nc_u32_e32 v77, 20, v75
	s_delay_alu instid0(VALU_DEP_2) | instskip(NEXT) | instid1(VALU_DEP_2)
	v_lshlrev_b64_e64 v[16:17], v16, -1
	v_lshlrev_b64_e64 v[76:77], v77, 1
	s_delay_alu instid0(VALU_DEP_2) | instskip(SKIP_1) | instid1(VALU_DEP_4)
	v_bfi_b32 v16, v16, 0, v4
	v_lshrrev_b64 v[4:5], v75, v[4:5]
	v_bfi_b32 v17, v17, 0, 0
	s_delay_alu instid0(VALU_DEP_1) | instskip(NEXT) | instid1(VALU_DEP_3)
	v_cmp_eq_u64_e64 s8, v[16:17], v[76:77]
	v_mov_b64_e32 v[16:17], v[4:5]
	s_and_saveexec_b32 s24, s8
; %bb.370:                              ;   in Loop: Header=BB4_130 Depth=3
	v_bfe_u32 v16, v4, 21, 1
	v_mov_b32_e32 v17, v55
	s_delay_alu instid0(VALU_DEP_1) | instskip(NEXT) | instid1(VALU_DEP_1)
	v_add_nc_u64_e32 v[16:17], v[4:5], v[16:17]
	v_add_nc_u64_e32 v[16:17], -1, v[16:17]
; %bb.371:                              ;   in Loop: Header=BB4_130 Depth=3
	s_or_b32 exec_lo, exec_lo, s24
	v_add_nc_u32_e32 v5, 0xffffff81, v74
	v_lshrrev_b32_e32 v17, 23, v4
	s_mov_b32 s8, exec_lo
	s_delay_alu instid0(VALU_DEP_2) | instskip(NEXT) | instid1(VALU_DEP_1)
	v_cndmask_b32_e64 v5, v5, 0xffffff82, vcc_lo
	v_add3_u32 v17, v75, v5, v17
	v_and_b32_e32 v5, 0x1fffff, v16
                                        ; implicit-def: $vgpr16
	s_delay_alu instid0(VALU_DEP_1) | instskip(SKIP_1) | instid1(VALU_DEP_2)
	v_dual_add_nc_u32 v74, 14, v17 :: v_dual_add_nc_u32 v4, v5, v4
	v_mov_b32_e32 v5, v55
	v_cmpx_ne_u32_e32 0, v74
	s_xor_b32 s8, exec_lo, s8
; %bb.372:                              ;   in Loop: Header=BB4_130 Depth=3
	s_delay_alu instid0(VALU_DEP_2) | instskip(SKIP_2) | instid1(VALU_DEP_2)
	v_cmp_lt_u64_e32 vcc_lo, 0xffffff, v[4:5]
	v_add_nc_u32_e32 v16, 15, v17
	v_cndmask_b32_e64 v17, 0, 1, vcc_lo
	v_cndmask_b32_e32 v16, v74, v16, vcc_lo
	s_delay_alu instid0(VALU_DEP_2)
	v_lshrrev_b64 v[4:5], v17, v[4:5]
; %bb.373:                              ;   in Loop: Header=BB4_130 Depth=3
	s_and_not1_saveexec_b32 s8, s8
; %bb.374:                              ;   in Loop: Header=BB4_130 Depth=3
	s_delay_alu instid0(VALU_DEP_1)
	v_bfe_u32 v16, v4, 23, 1
; %bb.375:                              ;   in Loop: Header=BB4_130 Depth=3
	s_or_b32 exec_lo, exec_lo, s8
	s_delay_alu instid0(VALU_DEP_2) | instskip(NEXT) | instid1(VALU_DEP_2)
	v_lshrrev_b64 v[4:5], 21, v[4:5]
	v_cmp_gt_i32_e32 vcc_lo, 32, v16
	v_min_i32_e32 v17, 31, v16
	v_cmp_eq_u32_e64 s8, 0, v16
	s_delay_alu instid0(VALU_DEP_4) | instskip(NEXT) | instid1(VALU_DEP_3)
	v_cndmask_b32_e32 v5, 0, v5, vcc_lo
	v_dual_cndmask_b32 v4, 3, v4 :: v_dual_lshlrev_b32 v17, 2, v17
	s_delay_alu instid0(VALU_DEP_1) | instskip(NEXT) | instid1(VALU_DEP_2)
	v_and_b32_e32 v17, 0xfc, v17
	v_cmp_eq_u64_e32 vcc_lo, 0, v[4:5]
	s_delay_alu instid0(VALU_DEP_2)
	v_and_or_b32 v4, v4, 3, v17
	s_and_b32 s8, s8, vcc_lo
	s_delay_alu instid0(VALU_DEP_1) | instid1(SALU_CYCLE_1)
	v_cndmask_b32_e64 v4, v4, 0, s8
	s_delay_alu instid0(VALU_DEP_1)
	v_or_b32_e32 v74, v4, v2
.LBB4_376:                              ;   in Loop: Header=BB4_130 Depth=3
	s_or_b32 exec_lo, exec_lo, s23
                                        ; implicit-def: $vgpr2
.LBB4_377:                              ;   in Loop: Header=BB4_130 Depth=3
	s_and_not1_saveexec_b32 s8, s22
; %bb.378:                              ;   in Loop: Header=BB4_130 Depth=3
	v_or_b32_e32 v74, 0x7b, v2
; %bb.379:                              ;   in Loop: Header=BB4_130 Depth=3
	s_or_b32 exec_lo, exec_lo, s8
                                        ; implicit-def: $vgpr16
                                        ; implicit-def: $vgpr4_vgpr5
                                        ; implicit-def: $vgpr2
.LBB4_380:                              ;   in Loop: Header=BB4_130 Depth=3
	s_and_not1_saveexec_b32 s8, s21
	s_cbranch_execz .LBB4_386
; %bb.381:                              ;   in Loop: Header=BB4_130 Depth=3
	s_mov_b32 s21, exec_lo
                                        ; implicit-def: $vgpr74
	v_cmpx_ne_u64_e32 0, v[4:5]
	s_xor_b32 s21, exec_lo, s21
; %bb.382:                              ;   in Loop: Header=BB4_130 Depth=3
	v_or_b32_e32 v74, 0x7f, v2
                                        ; implicit-def: $vgpr16
; %bb.383:                              ;   in Loop: Header=BB4_130 Depth=3
	s_and_not1_saveexec_b32 s21, s21
; %bb.384:                              ;   in Loop: Header=BB4_130 Depth=3
	v_cmp_lt_i32_e32 vcc_lo, -1, v16
	v_cndmask_b32_e32 v74, 0xfc, v58, vcc_lo
; %bb.385:                              ;   in Loop: Header=BB4_130 Depth=3
	s_or_b32 exec_lo, exec_lo, s21
.LBB4_386:                              ;   in Loop: Header=BB4_130 Depth=3
	s_delay_alu instid0(SALU_CYCLE_1) | instskip(SKIP_3) | instid1(VALU_DEP_2)
	s_or_b32 exec_lo, exec_lo, s8
	v_dual_lshrrev_b32 v2, 16, v18 :: v_dual_mov_b32 v4, 0
	v_mov_b32_e32 v5, 0
	s_mov_b32 s8, exec_lo
	v_and_b32_e32 v16, 0xff, v2
	s_delay_alu instid0(VALU_DEP_1)
	v_cmpx_ne_u16_e32 0, v16
	s_cbranch_execz .LBB4_396
; %bb.387:                              ;   in Loop: Header=BB4_130 Depth=3
	v_bfrev_b32_e32 v5, 1
	s_mov_b32 s21, exec_lo
	v_cmpx_ne_u16_e32 0x80, v16
	s_cbranch_execz .LBB4_395
; %bb.388:                              ;   in Loop: Header=BB4_130 Depth=3
	v_and_b32_e32 v5, 0x7c0000, v18
	v_bfe_u32 v16, v18, 16, 2
	s_delay_alu instid0(VALU_DEP_2) | instskip(SKIP_1) | instid1(SALU_CYCLE_1)
	v_cmp_ne_u32_e32 vcc_lo, 0x7c0000, v5
                                        ; implicit-def: $vgpr5
	s_and_saveexec_b32 s22, vcc_lo
	s_xor_b32 s22, exec_lo, s22
	s_cbranch_execz .LBB4_392
; %bb.389:                              ;   in Loop: Header=BB4_130 Depth=3
	v_bfe_u32 v5, v18, 18, 5
	s_mov_b32 s23, exec_lo
	s_delay_alu instid0(VALU_DEP_1)
	v_cmpx_eq_u32_e32 0, v5
; %bb.390:                              ;   in Loop: Header=BB4_130 Depth=3
	v_clz_i32_u32_e32 v5, v16
	s_delay_alu instid0(VALU_DEP_1) | instskip(NEXT) | instid1(VALU_DEP_1)
	v_min_u32_e32 v5, 32, v5
	v_subrev_nc_u32_e32 v16, 29, v5
	s_delay_alu instid0(VALU_DEP_1) | instskip(NEXT) | instid1(VALU_DEP_1)
	v_lshlrev_b64_e32 v[16:17], v16, v[2:3]
	v_dual_sub_nc_u32 v5, 30, v5 :: v_dual_bitop2_b32 v16, 3, v16 bitop3:0x40
; %bb.391:                              ;   in Loop: Header=BB4_130 Depth=3
	s_or_b32 exec_lo, exec_lo, s23
	v_lshlrev_b32_e32 v2, 24, v2
	s_delay_alu instid0(VALU_DEP_1) | instskip(NEXT) | instid1(VALU_DEP_1)
	v_and_b32_e32 v2, 0x80000000, v2
	v_lshl_add_u32 v2, v5, 23, v2
	s_delay_alu instid0(VALU_DEP_1) | instskip(NEXT) | instid1(VALU_DEP_1)
	v_lshl_or_b32 v2, v16, 21, v2
                                        ; implicit-def: $vgpr16
	v_add_nc_u32_e32 v5, 0x38000000, v2
                                        ; implicit-def: $vgpr2
.LBB4_392:                              ;   in Loop: Header=BB4_130 Depth=3
	s_and_not1_saveexec_b32 s22, s22
; %bb.393:                              ;   in Loop: Header=BB4_130 Depth=3
	v_bfe_i32 v2, v2, 0, 8
	s_delay_alu instid0(VALU_DEP_1) | instskip(SKIP_2) | instid1(VALU_DEP_2)
	v_cmp_lt_i16_e32 vcc_lo, -1, v2
	v_cndmask_b32_e32 v2, 0xff800000, v21, vcc_lo
	v_cmp_eq_u32_e32 vcc_lo, 0, v16
	v_cndmask_b32_e32 v5, 0x7f800001, v2, vcc_lo
; %bb.394:                              ;   in Loop: Header=BB4_130 Depth=3
	s_or_b32 exec_lo, exec_lo, s22
.LBB4_395:                              ;   in Loop: Header=BB4_130 Depth=3
	s_delay_alu instid0(SALU_CYCLE_1)
	s_or_b32 exec_lo, exec_lo, s21
.LBB4_396:                              ;   in Loop: Header=BB4_130 Depth=3
	s_delay_alu instid0(SALU_CYCLE_1) | instskip(SKIP_2) | instid1(VALU_DEP_1)
	s_or_b32 exec_lo, exec_lo, s8
	v_lshrrev_b32_e32 v2, 16, v54
	s_mov_b32 s8, exec_lo
	v_and_b32_e32 v16, 0xff, v2
	s_delay_alu instid0(VALU_DEP_1)
	v_cmpx_ne_u16_e32 0, v16
	s_cbranch_execz .LBB4_406
; %bb.397:                              ;   in Loop: Header=BB4_130 Depth=3
	v_bfrev_b32_e32 v4, 1
	s_mov_b32 s21, exec_lo
	v_cmpx_ne_u16_e32 0x80, v16
	s_cbranch_execz .LBB4_405
; %bb.398:                              ;   in Loop: Header=BB4_130 Depth=3
	v_and_b32_e32 v4, 0x7c0000, v54
	v_bfe_u32 v16, v54, 16, 2
	s_delay_alu instid0(VALU_DEP_2) | instskip(SKIP_1) | instid1(SALU_CYCLE_1)
	v_cmp_ne_u32_e32 vcc_lo, 0x7c0000, v4
                                        ; implicit-def: $vgpr4
	s_and_saveexec_b32 s22, vcc_lo
	s_xor_b32 s22, exec_lo, s22
	s_cbranch_execz .LBB4_402
; %bb.399:                              ;   in Loop: Header=BB4_130 Depth=3
	v_bfe_u32 v4, v54, 18, 5
	s_mov_b32 s23, exec_lo
	s_delay_alu instid0(VALU_DEP_1)
	v_cmpx_eq_u32_e32 0, v4
; %bb.400:                              ;   in Loop: Header=BB4_130 Depth=3
	v_clz_i32_u32_e32 v4, v16
	s_delay_alu instid0(VALU_DEP_1) | instskip(NEXT) | instid1(VALU_DEP_1)
	v_min_u32_e32 v4, 32, v4
	v_subrev_nc_u32_e32 v16, 29, v4
	v_sub_nc_u32_e32 v4, 30, v4
	s_delay_alu instid0(VALU_DEP_2) | instskip(NEXT) | instid1(VALU_DEP_1)
	v_lshlrev_b64_e32 v[16:17], v16, v[2:3]
	v_and_b32_e32 v16, 3, v16
; %bb.401:                              ;   in Loop: Header=BB4_130 Depth=3
	s_or_b32 exec_lo, exec_lo, s23
	v_lshlrev_b32_e32 v2, 24, v2
	s_delay_alu instid0(VALU_DEP_1) | instskip(NEXT) | instid1(VALU_DEP_1)
	v_and_b32_e32 v2, 0x80000000, v2
	v_lshl_add_u32 v2, v4, 23, v2
	s_delay_alu instid0(VALU_DEP_1) | instskip(NEXT) | instid1(VALU_DEP_1)
	v_lshl_or_b32 v2, v16, 21, v2
                                        ; implicit-def: $vgpr16
	v_add_nc_u32_e32 v4, 0x38000000, v2
                                        ; implicit-def: $vgpr2
.LBB4_402:                              ;   in Loop: Header=BB4_130 Depth=3
	s_and_not1_saveexec_b32 s22, s22
; %bb.403:                              ;   in Loop: Header=BB4_130 Depth=3
	v_bfe_i32 v2, v2, 0, 8
	s_delay_alu instid0(VALU_DEP_1) | instskip(SKIP_2) | instid1(VALU_DEP_2)
	v_cmp_lt_i16_e32 vcc_lo, -1, v2
	v_cndmask_b32_e32 v2, 0xff800000, v21, vcc_lo
	v_cmp_eq_u32_e32 vcc_lo, 0, v16
	v_cndmask_b32_e32 v4, 0x7f800001, v2, vcc_lo
; %bb.404:                              ;   in Loop: Header=BB4_130 Depth=3
	s_or_b32 exec_lo, exec_lo, s22
.LBB4_405:                              ;   in Loop: Header=BB4_130 Depth=3
	s_delay_alu instid0(SALU_CYCLE_1)
	s_or_b32 exec_lo, exec_lo, s21
.LBB4_406:                              ;   in Loop: Header=BB4_130 Depth=3
	s_delay_alu instid0(SALU_CYCLE_1) | instskip(NEXT) | instid1(VALU_DEP_1)
	s_or_b32 exec_lo, exec_lo, s8
	v_dual_mul_f32 v16, v5, v4 :: v_dual_mov_b32 v77, v55
	v_mov_b32_e32 v5, v55
                                        ; implicit-def: $vgpr75
	s_mov_b32 s8, exec_lo
	s_delay_alu instid0(VALU_DEP_2) | instskip(SKIP_2) | instid1(VALU_DEP_3)
	v_and_b32_e32 v76, 0x7f800000, v16
	v_and_b32_e32 v4, 0x7fffff, v16
	v_lshrrev_b32_e32 v2, 24, v16
	v_cmpx_ne_u64_e32 0x7f800000, v[76:77]
	s_xor_b32 s21, exec_lo, s8
	s_cbranch_execz .LBB4_420
; %bb.407:                              ;   in Loop: Header=BB4_130 Depth=3
	v_and_b32_e32 v76, 0x7fffffff, v16
	v_mov_b32_e32 v77, v55
	v_and_b32_e32 v2, 0x80, v2
                                        ; implicit-def: $vgpr75
	s_mov_b32 s8, exec_lo
	s_delay_alu instid0(VALU_DEP_2)
	v_cmpx_gt_u64_e32 0x47600001, v[76:77]
	s_xor_b32 s22, exec_lo, s8
	s_cbranch_execz .LBB4_417
; %bb.408:                              ;   in Loop: Header=BB4_130 Depth=3
	v_mov_b32_e32 v75, 0
	s_mov_b32 s23, exec_lo
	v_cmpx_ne_u32_e32 0, v16
	s_cbranch_execz .LBB4_416
; %bb.409:                              ;   in Loop: Header=BB4_130 Depth=3
	v_bfe_u32 v75, v16, 23, 8
	v_or_b32_e32 v77, 0x800000, v4
	s_delay_alu instid0(VALU_DEP_2) | instskip(SKIP_1) | instid1(VALU_DEP_2)
	v_sub_nc_u32_e32 v16, 0x71, v75
	v_cmp_gt_u32_e32 vcc_lo, 0x72, v75
	v_cndmask_b32_e32 v16, 0, v16, vcc_lo
	v_cmp_eq_u32_e32 vcc_lo, 0, v75
	s_delay_alu instid0(VALU_DEP_2) | instskip(SKIP_1) | instid1(VALU_DEP_2)
	v_cndmask_b32_e64 v76, v16, 0x70, vcc_lo
	v_cndmask_b32_e32 v4, v77, v4, vcc_lo
	v_dual_add_nc_u32 v16, 21, v76 :: v_dual_add_nc_u32 v78, 20, v76
	s_delay_alu instid0(VALU_DEP_1) | instskip(NEXT) | instid1(VALU_DEP_2)
	v_lshlrev_b64_e64 v[16:17], v16, -1
	v_lshlrev_b64_e64 v[78:79], v78, 1
	s_delay_alu instid0(VALU_DEP_2) | instskip(SKIP_1) | instid1(VALU_DEP_4)
	v_bfi_b32 v16, v16, 0, v4
	v_lshrrev_b64 v[4:5], v76, v[4:5]
	v_bfi_b32 v17, v17, 0, 0
	s_delay_alu instid0(VALU_DEP_1) | instskip(NEXT) | instid1(VALU_DEP_3)
	v_cmp_eq_u64_e64 s8, v[16:17], v[78:79]
	v_mov_b64_e32 v[16:17], v[4:5]
	s_and_saveexec_b32 s24, s8
; %bb.410:                              ;   in Loop: Header=BB4_130 Depth=3
	v_bfe_u32 v16, v4, 21, 1
	v_mov_b32_e32 v17, v55
	s_delay_alu instid0(VALU_DEP_1) | instskip(NEXT) | instid1(VALU_DEP_1)
	v_add_nc_u64_e32 v[16:17], v[4:5], v[16:17]
	v_add_nc_u64_e32 v[16:17], -1, v[16:17]
; %bb.411:                              ;   in Loop: Header=BB4_130 Depth=3
	s_or_b32 exec_lo, exec_lo, s24
	v_add_nc_u32_e32 v5, 0xffffff81, v75
	v_lshrrev_b32_e32 v17, 23, v4
	s_mov_b32 s8, exec_lo
	s_delay_alu instid0(VALU_DEP_2) | instskip(NEXT) | instid1(VALU_DEP_1)
	v_cndmask_b32_e64 v5, v5, 0xffffff82, vcc_lo
	v_add3_u32 v17, v76, v5, v17
	v_and_b32_e32 v5, 0x1fffff, v16
                                        ; implicit-def: $vgpr16
	s_delay_alu instid0(VALU_DEP_1) | instskip(SKIP_1) | instid1(VALU_DEP_2)
	v_dual_add_nc_u32 v75, 14, v17 :: v_dual_add_nc_u32 v4, v5, v4
	v_mov_b32_e32 v5, v55
	v_cmpx_ne_u32_e32 0, v75
	s_xor_b32 s8, exec_lo, s8
; %bb.412:                              ;   in Loop: Header=BB4_130 Depth=3
	s_delay_alu instid0(VALU_DEP_2) | instskip(SKIP_2) | instid1(VALU_DEP_2)
	v_cmp_lt_u64_e32 vcc_lo, 0xffffff, v[4:5]
	v_add_nc_u32_e32 v16, 15, v17
	v_cndmask_b32_e64 v17, 0, 1, vcc_lo
	v_cndmask_b32_e32 v16, v75, v16, vcc_lo
	s_delay_alu instid0(VALU_DEP_2)
	v_lshrrev_b64 v[4:5], v17, v[4:5]
; %bb.413:                              ;   in Loop: Header=BB4_130 Depth=3
	s_and_not1_saveexec_b32 s8, s8
; %bb.414:                              ;   in Loop: Header=BB4_130 Depth=3
	s_delay_alu instid0(VALU_DEP_1)
	v_bfe_u32 v16, v4, 23, 1
; %bb.415:                              ;   in Loop: Header=BB4_130 Depth=3
	s_or_b32 exec_lo, exec_lo, s8
	s_delay_alu instid0(VALU_DEP_2) | instskip(NEXT) | instid1(VALU_DEP_2)
	v_lshrrev_b64 v[4:5], 21, v[4:5]
	v_cmp_gt_i32_e32 vcc_lo, 32, v16
	v_min_i32_e32 v17, 31, v16
	v_cmp_eq_u32_e64 s8, 0, v16
	s_delay_alu instid0(VALU_DEP_4) | instskip(NEXT) | instid1(VALU_DEP_3)
	v_cndmask_b32_e32 v5, 0, v5, vcc_lo
	v_dual_cndmask_b32 v4, 3, v4 :: v_dual_lshlrev_b32 v17, 2, v17
	s_delay_alu instid0(VALU_DEP_1) | instskip(NEXT) | instid1(VALU_DEP_2)
	v_and_b32_e32 v17, 0xfc, v17
	v_cmp_eq_u64_e32 vcc_lo, 0, v[4:5]
	s_delay_alu instid0(VALU_DEP_2)
	v_and_or_b32 v4, v4, 3, v17
	s_and_b32 s8, s8, vcc_lo
	s_delay_alu instid0(VALU_DEP_1) | instid1(SALU_CYCLE_1)
	v_cndmask_b32_e64 v4, v4, 0, s8
	s_delay_alu instid0(VALU_DEP_1)
	v_or_b32_e32 v75, v4, v2
.LBB4_416:                              ;   in Loop: Header=BB4_130 Depth=3
	s_or_b32 exec_lo, exec_lo, s23
                                        ; implicit-def: $vgpr2
.LBB4_417:                              ;   in Loop: Header=BB4_130 Depth=3
	s_and_not1_saveexec_b32 s8, s22
; %bb.418:                              ;   in Loop: Header=BB4_130 Depth=3
	v_or_b32_e32 v75, 0x7b, v2
; %bb.419:                              ;   in Loop: Header=BB4_130 Depth=3
	s_or_b32 exec_lo, exec_lo, s8
                                        ; implicit-def: $vgpr16
                                        ; implicit-def: $vgpr4_vgpr5
                                        ; implicit-def: $vgpr2
.LBB4_420:                              ;   in Loop: Header=BB4_130 Depth=3
	s_and_not1_saveexec_b32 s8, s21
	s_cbranch_execz .LBB4_426
; %bb.421:                              ;   in Loop: Header=BB4_130 Depth=3
	s_mov_b32 s21, exec_lo
                                        ; implicit-def: $vgpr75
	v_cmpx_ne_u64_e32 0, v[4:5]
	s_xor_b32 s21, exec_lo, s21
; %bb.422:                              ;   in Loop: Header=BB4_130 Depth=3
	v_or_b32_e32 v75, 0x7f, v2
                                        ; implicit-def: $vgpr16
; %bb.423:                              ;   in Loop: Header=BB4_130 Depth=3
	s_and_not1_saveexec_b32 s21, s21
; %bb.424:                              ;   in Loop: Header=BB4_130 Depth=3
	v_cmp_lt_i32_e32 vcc_lo, -1, v16
	v_cndmask_b32_e32 v75, 0xfc, v58, vcc_lo
; %bb.425:                              ;   in Loop: Header=BB4_130 Depth=3
	s_or_b32 exec_lo, exec_lo, s21
.LBB4_426:                              ;   in Loop: Header=BB4_130 Depth=3
	s_delay_alu instid0(SALU_CYCLE_1) | instskip(SKIP_3) | instid1(VALU_DEP_2)
	s_or_b32 exec_lo, exec_lo, s8
	v_dual_mov_b32 v4, v55 :: v_dual_mov_b32 v5, v18
	v_dual_mov_b32 v16, 0 :: v_dual_mov_b32 v17, 0
	s_mov_b32 s8, exec_lo
	v_cmpx_lt_u64_e64 s[12:13], v[4:5]
	s_cbranch_execz .LBB4_436
; %bb.427:                              ;   in Loop: Header=BB4_130 Depth=3
	v_lshrrev_b32_e32 v2, 24, v18
	v_bfrev_b32_e32 v17, 1
	s_mov_b32 s21, exec_lo
	s_delay_alu instid0(VALU_DEP_2)
	v_cmpx_ne_u32_e32 0x80, v2
	s_cbranch_execz .LBB4_435
; %bb.428:                              ;   in Loop: Header=BB4_130 Depth=3
	v_and_b32_e32 v17, 0x7c000000, v18
	v_bfe_u32 v76, v18, 24, 2
	s_delay_alu instid0(VALU_DEP_2) | instskip(SKIP_1) | instid1(SALU_CYCLE_1)
	v_cmp_ne_u32_e32 vcc_lo, 0x7c000000, v17
                                        ; implicit-def: $vgpr17
	s_and_saveexec_b32 s22, vcc_lo
	s_xor_b32 s22, exec_lo, s22
	s_cbranch_execz .LBB4_432
; %bb.429:                              ;   in Loop: Header=BB4_130 Depth=3
	v_bfe_u32 v4, v18, 26, 5
	s_mov_b32 s23, exec_lo
	s_delay_alu instid0(VALU_DEP_1)
	v_cmpx_eq_u32_e32 0, v4
; %bb.430:                              ;   in Loop: Header=BB4_130 Depth=3
	v_clz_i32_u32_e32 v4, v76
	s_delay_alu instid0(VALU_DEP_1) | instskip(NEXT) | instid1(VALU_DEP_1)
	v_min_u32_e32 v4, 32, v4
	v_subrev_nc_u32_e32 v5, 29, v4
	v_sub_nc_u32_e32 v4, 30, v4
	s_delay_alu instid0(VALU_DEP_2) | instskip(NEXT) | instid1(VALU_DEP_1)
	v_lshlrev_b64_e32 v[76:77], v5, v[2:3]
	v_and_b32_e32 v76, 3, v76
; %bb.431:                              ;   in Loop: Header=BB4_130 Depth=3
	s_or_b32 exec_lo, exec_lo, s23
	v_and_b32_e32 v2, 0x80000000, v18
	s_delay_alu instid0(VALU_DEP_1) | instskip(NEXT) | instid1(VALU_DEP_1)
	v_lshl_add_u32 v2, v4, 23, v2
                                        ; implicit-def: $vgpr4_vgpr5
	v_lshl_or_b32 v2, v76, 21, v2
                                        ; implicit-def: $vgpr76
	s_delay_alu instid0(VALU_DEP_1)
	v_add_nc_u32_e32 v17, 0x38000000, v2
.LBB4_432:                              ;   in Loop: Header=BB4_130 Depth=3
	s_and_not1_saveexec_b32 s22, s22
; %bb.433:                              ;   in Loop: Header=BB4_130 Depth=3
	v_cmp_lt_i64_e32 vcc_lo, -1, v[4:5]
	v_cndmask_b32_e32 v2, 0xff800000, v21, vcc_lo
	v_cmp_eq_u32_e32 vcc_lo, 0, v76
	s_delay_alu instid0(VALU_DEP_2)
	v_cndmask_b32_e32 v17, 0x7f800001, v2, vcc_lo
; %bb.434:                              ;   in Loop: Header=BB4_130 Depth=3
	s_or_b32 exec_lo, exec_lo, s22
.LBB4_435:                              ;   in Loop: Header=BB4_130 Depth=3
	s_delay_alu instid0(SALU_CYCLE_1)
	s_or_b32 exec_lo, exec_lo, s21
.LBB4_436:                              ;   in Loop: Header=BB4_130 Depth=3
	s_delay_alu instid0(SALU_CYCLE_1) | instskip(NEXT) | instid1(SALU_CYCLE_1)
	s_or_b32 exec_lo, exec_lo, s8
	s_mov_b32 s8, exec_lo
	v_cmpx_lt_u32_e32 0xffffff, v54
	s_cbranch_execz .LBB4_446
; %bb.437:                              ;   in Loop: Header=BB4_130 Depth=3
	v_lshrrev_b32_e32 v2, 24, v54
	v_bfrev_b32_e32 v16, 1
	s_mov_b32 s21, exec_lo
	s_delay_alu instid0(VALU_DEP_2)
	v_cmpx_ne_u32_e32 0x80, v2
	s_cbranch_execz .LBB4_445
; %bb.438:                              ;   in Loop: Header=BB4_130 Depth=3
	v_and_b32_e32 v5, 0x7c000000, v54
	v_bfe_u32 v4, v54, 24, 2
	s_mov_b32 s22, exec_lo
                                        ; implicit-def: $vgpr16
	s_delay_alu instid0(VALU_DEP_2)
	v_cmpx_ne_u32_e32 0x7c000000, v5
	s_xor_b32 s22, exec_lo, s22
	s_cbranch_execz .LBB4_442
; %bb.439:                              ;   in Loop: Header=BB4_130 Depth=3
	v_bfe_u32 v5, v54, 26, 5
	s_mov_b32 s23, exec_lo
	s_delay_alu instid0(VALU_DEP_1)
	v_cmpx_eq_u32_e32 0, v5
; %bb.440:                              ;   in Loop: Header=BB4_130 Depth=3
	v_clz_i32_u32_e32 v4, v4
	s_delay_alu instid0(VALU_DEP_1) | instskip(NEXT) | instid1(VALU_DEP_1)
	v_min_u32_e32 v16, 32, v4
	v_subrev_nc_u32_e32 v4, 29, v16
	s_delay_alu instid0(VALU_DEP_1) | instskip(SKIP_1) | instid1(VALU_DEP_2)
	v_lshlrev_b64_e32 v[4:5], v4, v[2:3]
	v_sub_nc_u32_e32 v5, 30, v16
	v_and_b32_e32 v4, 3, v4
; %bb.441:                              ;   in Loop: Header=BB4_130 Depth=3
	s_or_b32 exec_lo, exec_lo, s23
	v_and_b32_e32 v2, 0x80000000, v54
	s_delay_alu instid0(VALU_DEP_1) | instskip(NEXT) | instid1(VALU_DEP_1)
	v_lshl_add_u32 v2, v5, 23, v2
	v_lshl_or_b32 v2, v4, 21, v2
                                        ; implicit-def: $vgpr4
	s_delay_alu instid0(VALU_DEP_1)
	v_add_nc_u32_e32 v16, 0x38000000, v2
.LBB4_442:                              ;   in Loop: Header=BB4_130 Depth=3
	s_and_not1_saveexec_b32 s22, s22
; %bb.443:                              ;   in Loop: Header=BB4_130 Depth=3
	v_cmp_lt_i32_e32 vcc_lo, -1, v54
	v_cndmask_b32_e32 v2, 0xff800000, v21, vcc_lo
	v_cmp_eq_u32_e32 vcc_lo, 0, v4
	s_delay_alu instid0(VALU_DEP_2)
	v_cndmask_b32_e32 v16, 0x7f800001, v2, vcc_lo
; %bb.444:                              ;   in Loop: Header=BB4_130 Depth=3
	s_or_b32 exec_lo, exec_lo, s22
.LBB4_445:                              ;   in Loop: Header=BB4_130 Depth=3
	s_delay_alu instid0(SALU_CYCLE_1)
	s_or_b32 exec_lo, exec_lo, s21
.LBB4_446:                              ;   in Loop: Header=BB4_130 Depth=3
	s_delay_alu instid0(SALU_CYCLE_1) | instskip(NEXT) | instid1(VALU_DEP_1)
	s_or_b32 exec_lo, exec_lo, s8
	v_dual_mul_f32 v5, v17, v16 :: v_dual_mov_b32 v17, v55
                                        ; implicit-def: $vgpr4
	s_mov_b32 s8, exec_lo
	s_delay_alu instid0(VALU_DEP_1) | instskip(SKIP_2) | instid1(VALU_DEP_3)
	v_and_b32_e32 v16, 0x7f800000, v5
	v_and_b32_e32 v54, 0x7fffff, v5
	v_lshrrev_b32_e32 v2, 24, v5
	v_cmpx_ne_u64_e32 0x7f800000, v[16:17]
	s_xor_b32 s21, exec_lo, s8
	s_cbranch_execz .LBB4_460
; %bb.447:                              ;   in Loop: Header=BB4_130 Depth=3
	v_and_b32_e32 v16, 0x7fffffff, v5
	v_mov_b32_e32 v17, v55
	v_and_b32_e32 v2, 0x80, v2
                                        ; implicit-def: $vgpr4
	s_mov_b32 s8, exec_lo
	s_delay_alu instid0(VALU_DEP_2)
	v_cmpx_gt_u64_e32 0x47600001, v[16:17]
	s_xor_b32 s22, exec_lo, s8
	s_cbranch_execz .LBB4_457
; %bb.448:                              ;   in Loop: Header=BB4_130 Depth=3
	v_mov_b32_e32 v4, 0
	s_mov_b32 s23, exec_lo
	v_cmpx_ne_u32_e32 0, v5
	s_cbranch_execz .LBB4_456
; %bb.449:                              ;   in Loop: Header=BB4_130 Depth=3
	v_bfe_u32 v18, v5, 23, 8
	v_or_b32_e32 v16, 0x800000, v54
	s_delay_alu instid0(VALU_DEP_2) | instskip(SKIP_1) | instid1(VALU_DEP_2)
	v_sub_nc_u32_e32 v4, 0x71, v18
	v_cmp_gt_u32_e32 vcc_lo, 0x72, v18
	v_cndmask_b32_e32 v4, 0, v4, vcc_lo
	v_cmp_eq_u32_e32 vcc_lo, 0, v18
	v_cndmask_b32_e32 v54, v16, v54, vcc_lo
	s_delay_alu instid0(VALU_DEP_3) | instskip(NEXT) | instid1(VALU_DEP_1)
	v_cndmask_b32_e64 v76, v4, 0x70, vcc_lo
	v_dual_add_nc_u32 v4, 21, v76 :: v_dual_add_nc_u32 v17, 20, v76
	s_delay_alu instid0(VALU_DEP_1) | instskip(NEXT) | instid1(VALU_DEP_2)
	v_lshlrev_b64_e64 v[4:5], v4, -1
	v_lshlrev_b64_e64 v[16:17], v17, 1
	s_delay_alu instid0(VALU_DEP_2) | instskip(NEXT) | instid1(VALU_DEP_3)
	v_bfi_b32 v79, v5, 0, 0
	v_bfi_b32 v78, v4, 0, v54
	v_lshrrev_b64 v[4:5], v76, v[54:55]
	s_delay_alu instid0(VALU_DEP_2) | instskip(NEXT) | instid1(VALU_DEP_2)
	v_cmp_eq_u64_e64 s8, v[78:79], v[16:17]
	v_mov_b64_e32 v[16:17], v[4:5]
	s_and_saveexec_b32 s24, s8
; %bb.450:                              ;   in Loop: Header=BB4_130 Depth=3
	v_bfe_u32 v54, v4, 21, 1
	s_delay_alu instid0(VALU_DEP_1) | instskip(NEXT) | instid1(VALU_DEP_1)
	v_add_nc_u64_e32 v[16:17], v[4:5], v[54:55]
	v_add_nc_u64_e32 v[16:17], -1, v[16:17]
; %bb.451:                              ;   in Loop: Header=BB4_130 Depth=3
	s_or_b32 exec_lo, exec_lo, s24
	v_add_nc_u32_e32 v5, 0xffffff81, v18
	v_lshrrev_b32_e32 v17, 23, v4
	s_mov_b32 s8, exec_lo
	s_delay_alu instid0(VALU_DEP_2) | instskip(NEXT) | instid1(VALU_DEP_1)
	v_cndmask_b32_e64 v5, v5, 0xffffff82, vcc_lo
	v_add3_u32 v17, v76, v5, v17
	v_and_b32_e32 v5, 0x1fffff, v16
                                        ; implicit-def: $vgpr16
	s_delay_alu instid0(VALU_DEP_1) | instskip(NEXT) | instid1(VALU_DEP_1)
	v_dual_add_nc_u32 v18, 14, v17 :: v_dual_add_nc_u32 v54, v5, v4
                                        ; implicit-def: $vgpr4_vgpr5
	v_cmpx_ne_u32_e32 0, v18
	s_xor_b32 s8, exec_lo, s8
; %bb.452:                              ;   in Loop: Header=BB4_130 Depth=3
	s_delay_alu instid0(VALU_DEP_2) | instskip(SKIP_1) | instid1(VALU_DEP_1)
	v_cmp_lt_u64_e32 vcc_lo, 0xffffff, v[54:55]
	v_add_nc_u32_e32 v4, 15, v17
	v_cndmask_b32_e32 v16, v18, v4, vcc_lo
	v_cndmask_b32_e64 v4, 0, 1, vcc_lo
	s_delay_alu instid0(VALU_DEP_1)
	v_lshrrev_b64 v[4:5], v4, v[54:55]
; %bb.453:                              ;   in Loop: Header=BB4_130 Depth=3
	s_and_not1_saveexec_b32 s8, s8
; %bb.454:                              ;   in Loop: Header=BB4_130 Depth=3
	v_mov_b64_e32 v[4:5], v[54:55]
	v_bfe_u32 v16, v54, 23, 1
; %bb.455:                              ;   in Loop: Header=BB4_130 Depth=3
	s_or_b32 exec_lo, exec_lo, s8
	s_delay_alu instid0(VALU_DEP_2) | instskip(NEXT) | instid1(VALU_DEP_2)
	v_lshrrev_b64 v[4:5], 21, v[4:5]
	v_cmp_gt_i32_e32 vcc_lo, 32, v16
	v_min_i32_e32 v17, 31, v16
	v_cmp_eq_u32_e64 s8, 0, v16
	s_delay_alu instid0(VALU_DEP_4) | instskip(NEXT) | instid1(VALU_DEP_3)
	v_cndmask_b32_e32 v5, 0, v5, vcc_lo
	v_dual_cndmask_b32 v4, 3, v4 :: v_dual_lshlrev_b32 v17, 2, v17
	s_delay_alu instid0(VALU_DEP_1) | instskip(NEXT) | instid1(VALU_DEP_2)
	v_and_b32_e32 v17, 0xfc, v17
	v_cmp_eq_u64_e32 vcc_lo, 0, v[4:5]
	s_delay_alu instid0(VALU_DEP_2)
	v_and_or_b32 v4, v4, 3, v17
	s_and_b32 s8, s8, vcc_lo
	s_delay_alu instid0(VALU_DEP_1) | instid1(SALU_CYCLE_1)
	v_cndmask_b32_e64 v4, v4, 0, s8
	s_delay_alu instid0(VALU_DEP_1)
	v_or_b32_e32 v4, v4, v2
.LBB4_456:                              ;   in Loop: Header=BB4_130 Depth=3
	s_or_b32 exec_lo, exec_lo, s23
                                        ; implicit-def: $vgpr2
.LBB4_457:                              ;   in Loop: Header=BB4_130 Depth=3
	s_and_not1_saveexec_b32 s8, s22
; %bb.458:                              ;   in Loop: Header=BB4_130 Depth=3
	v_or_b32_e32 v4, 0x7b, v2
; %bb.459:                              ;   in Loop: Header=BB4_130 Depth=3
	s_or_b32 exec_lo, exec_lo, s8
                                        ; implicit-def: $vgpr5
                                        ; implicit-def: $vgpr2
.LBB4_460:                              ;   in Loop: Header=BB4_130 Depth=3
	s_and_not1_saveexec_b32 s8, s21
	s_cbranch_execz .LBB4_129
; %bb.461:                              ;   in Loop: Header=BB4_130 Depth=3
	s_mov_b32 s21, exec_lo
                                        ; implicit-def: $vgpr4
	v_cmpx_ne_u64_e32 0, v[54:55]
	s_xor_b32 s21, exec_lo, s21
; %bb.462:                              ;   in Loop: Header=BB4_130 Depth=3
	v_or_b32_e32 v4, 0x7f, v2
                                        ; implicit-def: $vgpr5
; %bb.463:                              ;   in Loop: Header=BB4_130 Depth=3
	s_and_not1_saveexec_b32 s21, s21
	s_cbranch_execz .LBB4_128
; %bb.464:                              ;   in Loop: Header=BB4_130 Depth=3
	v_cmp_lt_i32_e32 vcc_lo, -1, v5
	v_cndmask_b32_e32 v4, 0xfc, v58, vcc_lo
	s_branch .LBB4_128
.LBB4_465:                              ;   in Loop: Header=BB4_85 Depth=2
	s_or_b32 exec_lo, exec_lo, s20
	s_delay_alu instid0(SALU_CYCLE_1)
	s_or_b32 exec_lo, exec_lo, s19
	s_and_saveexec_b32 s8, s3
	s_cbranch_execz .LBB4_122
.LBB4_466:                              ;   in Loop: Header=BB4_85 Depth=2
	s_and_saveexec_b32 s19, s4
	s_delay_alu instid0(SALU_CYCLE_1)
	s_xor_b32 s19, exec_lo, s19
	s_cbranch_execz .LBB4_481
; %bb.467:                              ;   in Loop: Header=BB4_85 Depth=2
	s_and_saveexec_b32 s20, s5
	s_cbranch_execz .LBB4_480
; %bb.468:                              ;   in Loop: Header=BB4_85 Depth=2
	s_mov_b32 s22, exec_lo
	s_mov_b32 s21, exec_lo
	v_mbcnt_lo_u32_b32 v2, s22, 0
	global_wb scope:SCOPE_DEV
	s_wait_storecnt 0x0
	s_wait_loadcnt_dscnt 0x0
	global_inv scope:SCOPE_DEV
	v_cmpx_eq_u32_e32 0, v2
	s_cbranch_execz .LBB4_470
; %bb.469:                              ;   in Loop: Header=BB4_85 Depth=2
	s_bcnt1_i32_b32 s22, s22
	s_delay_alu instid0(SALU_CYCLE_1)
	v_mov_b32_e32 v54, s22
	s_wait_loadcnt 0x0
	ds_add_u64 v0, v[54:55]
	s_trap 2
.LBB4_470:                              ;   in Loop: Header=BB4_85 Depth=2
	s_or_b32 exec_lo, exec_lo, s21
	s_trap 2
	ds_load_b64 v[4:5], v0
	s_wait_dscnt 0x0
	v_add_nc_u64_e32 v[52:53], v[52:53], v[84:85]
	s_mov_b32 s21, exec_lo
	s_delay_alu instid0(VALU_DEP_1)
	v_cmpx_lt_u64_e64 v[4:5], v[52:53]
	s_cbranch_execz .LBB4_479
; %bb.471:                              ;   in Loop: Header=BB4_85 Depth=2
	s_mov_b32 s22, 0
	s_mov_b32 s25, 0
                                        ; implicit-def: $sgpr23
                                        ; implicit-def: $sgpr24
	s_branch .LBB4_473
.LBB4_472:                              ;   in Loop: Header=BB4_473 Depth=3
	s_or_b32 exec_lo, exec_lo, s27
	s_delay_alu instid0(SALU_CYCLE_1) | instskip(NEXT) | instid1(SALU_CYCLE_1)
	s_and_b32 s26, exec_lo, s28
	s_or_b32 s22, s26, s22
	s_and_not1_b32 s23, s23, exec_lo
	s_and_b32 s26, s24, exec_lo
	s_delay_alu instid0(SALU_CYCLE_1)
	s_or_b32 s23, s23, s26
	s_and_not1_b32 exec_lo, exec_lo, s22
	s_cbranch_execz .LBB4_477
.LBB4_473:                              ;   Parent Loop BB4_36 Depth=1
                                        ;     Parent Loop BB4_85 Depth=2
                                        ; =>    This Inner Loop Header: Depth=3
	s_add_co_i32 s25, s25, 1
	s_delay_alu instid0(SALU_CYCLE_1) | instskip(SKIP_1) | instid1(SALU_CYCLE_1)
	s_cmp_lg_u32 s25, 0x2710
	s_cselect_b32 s26, -1, 0
	s_and_b32 vcc_lo, exec_lo, s26
	s_cbranch_vccz .LBB4_475
; %bb.474:                              ;   in Loop: Header=BB4_473 Depth=3
	s_mov_b32 s28, -1
	s_or_b32 s24, s24, exec_lo
	s_and_saveexec_b32 s27, s26
	s_cbranch_execz .LBB4_472
	s_branch .LBB4_476
.LBB4_475:                              ;   in Loop: Header=BB4_473 Depth=3
	s_trap 2
	ds_load_b64 v[4:5], v0
	s_and_not1_b32 s26, s26, exec_lo
	s_mov_b32 s25, 0
	s_wait_loadcnt_dscnt 0x0
	flat_load_b32 v2, v[4:5] scope:SCOPE_SYS
	s_wait_loadcnt_dscnt 0x0
	global_inv scope:SCOPE_SYS
	v_cmp_eq_u32_e32 vcc_lo, 0, v2
	s_and_b32 s27, vcc_lo, exec_lo
	s_delay_alu instid0(SALU_CYCLE_1)
	s_or_b32 s26, s26, s27
	s_mov_b32 s28, -1
	s_or_b32 s24, s24, exec_lo
	s_and_saveexec_b32 s27, s26
	s_cbranch_execz .LBB4_472
.LBB4_476:                              ;   in Loop: Header=BB4_473 Depth=3
	s_sleep 1
	s_trap 2
	ds_load_b64 v[4:5], v0
	s_wait_dscnt 0x0
	s_and_not1_b32 s24, s24, exec_lo
	v_cmp_ge_u64_e32 vcc_lo, v[4:5], v[52:53]
	s_or_not1_b32 s28, vcc_lo, exec_lo
	s_branch .LBB4_472
.LBB4_477:                              ;   in Loop: Header=BB4_85 Depth=2
	s_or_b32 exec_lo, exec_lo, s22
	s_and_saveexec_b32 s22, s23
	s_delay_alu instid0(SALU_CYCLE_1)
	s_xor_b32 s22, exec_lo, s22
	s_cbranch_execz .LBB4_479
; %bb.478:                              ;   in Loop: Header=BB4_85 Depth=2
	ds_store_b32 v0, v1
	s_trap 2
.LBB4_479:                              ;   in Loop: Header=BB4_85 Depth=2
	s_or_b32 exec_lo, exec_lo, s21
	;;#ASMSTART
	s_wakeup
	;;#ASMEND
.LBB4_480:                              ;   in Loop: Header=BB4_85 Depth=2
	s_or_b32 exec_lo, exec_lo, s20
.LBB4_481:                              ;   in Loop: Header=BB4_85 Depth=2
	s_and_not1_saveexec_b32 s19, s19
	s_cbranch_execz .LBB4_483
; %bb.482:                              ;   in Loop: Header=BB4_85 Depth=2
	global_wb scope:SCOPE_DEV
	s_wait_storecnt 0x0
	s_wait_loadcnt_dscnt 0x0
	global_inv scope:SCOPE_DEV
	s_barrier_signal -1
	s_barrier_wait -1
.LBB4_483:                              ;   in Loop: Header=BB4_85 Depth=2
	s_or_b32 exec_lo, exec_lo, s19
	s_delay_alu instid0(SALU_CYCLE_1)
	s_or_b32 exec_lo, exec_lo, s8
	s_and_saveexec_b32 s8, s6
	s_cbranch_execnz .LBB4_123
	s_branch .LBB4_124
.LBB4_484:                              ;   in Loop: Header=BB4_36 Depth=1
	s_delay_alu instid0(VALU_DEP_1)
	v_mov_b64_e32 v[16:17], v[114:115]
	s_and_saveexec_b32 s8, s7
	s_cbranch_execnz .LBB4_487
; %bb.485:                              ;   in Loop: Header=BB4_36 Depth=1
	s_or_b32 exec_lo, exec_lo, s8
	s_and_saveexec_b32 s7, s3
	s_cbranch_execnz .LBB4_844
.LBB4_486:                              ;   in Loop: Header=BB4_36 Depth=1
	s_or_b32 exec_lo, exec_lo, s7
	s_and_saveexec_b32 s7, s6
	s_cbranch_execz .LBB4_35
	s_branch .LBB4_862
.LBB4_487:                              ;   in Loop: Header=BB4_36 Depth=1
	s_wait_loadcnt_dscnt 0x0
	flat_load_b32 v4, v[22:23]
	v_add_nc_u64_e32 v[2:3], v[10:11], v[112:113]
	v_dual_mov_b32 v116, v0 :: v_dual_bitop2_b32 v5, 7, v34 bitop3:0x40
	s_mov_b32 s18, 0
	v_add_nc_u32_e32 v42, 1, v34
	s_wait_loadcnt_dscnt 0x0
	s_delay_alu instid0(VALU_DEP_3) | instskip(SKIP_1) | instid1(VALU_DEP_2)
	v_mad_nc_u64_u32 v[2:3], v68, v4, v[2:3]
	v_ashrrev_i32_e32 v18, 31, v4
	v_mad_u32 v3, v69, v4, v3
	v_mul_lo_u32 v4, v5, s15
	s_delay_alu instid0(VALU_DEP_2) | instskip(NEXT) | instid1(VALU_DEP_2)
	v_mad_u32 v3, v68, v18, v3
	v_ashrrev_i32_e32 v5, 31, v4
	v_add_nc_u64_e32 v[18:19], v[8:9], v[112:113]
	s_delay_alu instid0(VALU_DEP_2) | instskip(NEXT) | instid1(VALU_DEP_4)
	v_lshl_add_u64 v[114:115], v[4:5], 4, v[32:33]
	v_add_nc_u64_e32 v[112:113], v[2:3], v[82:83]
	s_branch .LBB4_489
.LBB4_488:                              ;   in Loop: Header=BB4_489 Depth=2
	v_sub_nc_u32_e32 v60, v60, v86
	v_add_nc_u64_e32 v[112:113], v[112:113], v[86:87]
	s_wait_xcnt 0x0
	v_add_nc_u64_e32 v[18:19], v[18:19], v[86:87]
	v_add_nc_u32_e32 v116, v116, v20
	v_cmp_gt_i32_e32 vcc_lo, 1, v60
	s_or_b32 s18, vcc_lo, s18
	s_delay_alu instid0(SALU_CYCLE_1)
	s_and_not1_b32 exec_lo, exec_lo, s18
	s_cbranch_execz .LBB4_843
.LBB4_489:                              ;   Parent Loop BB4_36 Depth=1
                                        ; =>  This Loop Header: Depth=2
                                        ;       Child Loop BB4_497 Depth 3
	s_delay_alu instid0(VALU_DEP_1)
	v_dual_mov_b32 v3, v113 :: v_dual_bitop2_b32 v2, -4, v112 bitop3:0x40
	v_min_u32_e32 v4, 8, v60
	v_dual_mov_b32 v44, 0 :: v_dual_bitop2_b32 v5, 3, v112 bitop3:0x40
	v_mov_b32_e32 v45, 0
	global_load_b32 v30, v[2:3], off th:TH_LOAD_NT
	s_mov_b32 s7, exec_lo
	v_add_nc_u32_e32 v54, v5, v4
	s_wait_xcnt 0x0
	s_delay_alu instid0(VALU_DEP_1)
	v_cmpx_lt_u32_e32 4, v54
	s_cbranch_execz .LBB4_491
; %bb.490:                              ;   in Loop: Header=BB4_489 Depth=2
	global_load_b32 v45, v[2:3], off offset:4 th:TH_LOAD_NT
.LBB4_491:                              ;   in Loop: Header=BB4_489 Depth=2
	s_wait_xcnt 0x0
	s_or_b32 exec_lo, exec_lo, s7
	s_delay_alu instid0(SALU_CYCLE_1)
	s_mov_b32 s7, exec_lo
	v_cmpx_lt_u64_e32 8, v[54:55]
	s_cbranch_execz .LBB4_493
; %bb.492:                              ;   in Loop: Header=BB4_489 Depth=2
	global_load_b32 v44, v[2:3], off offset:8 th:TH_LOAD_NT
.LBB4_493:                              ;   in Loop: Header=BB4_489 Depth=2
	s_wait_xcnt 0x0
	s_or_b32 exec_lo, exec_lo, s7
	v_ashrrev_i32_e32 v117, 31, v116
	s_mov_b32 s19, exec_lo
	s_delay_alu instid0(VALU_DEP_1)
	v_lshl_add_u64 v[118:119], v[116:117], 4, v[114:115]
	global_load_b128 v[2:5], v[118:119], off th:TH_LOAD_NT
	s_wait_xcnt 0x0
	v_cmpx_eq_u32_e32 0, v59
	s_cbranch_execz .LBB4_505
; %bb.494:                              ;   in Loop: Header=BB4_489 Depth=2
	s_wait_loadcnt 0x0
	v_cmp_ne_u32_e32 vcc_lo, v42, v3
	v_cmp_ne_u32_e64 s7, v42, v5
	v_mov_b32_e32 v59, 0
	s_or_b32 s7, vcc_lo, s7
	s_delay_alu instid0(SALU_CYCLE_1)
	s_and_saveexec_b32 s20, s7
	s_cbranch_execz .LBB4_504
; %bb.495:                              ;   in Loop: Header=BB4_489 Depth=2
	s_mov_b32 s24, 1
	s_mov_b32 s22, 0
                                        ; implicit-def: $sgpr21
                                        ; implicit-def: $sgpr23
	s_branch .LBB4_497
.LBB4_496:                              ;   in Loop: Header=BB4_497 Depth=3
	s_or_b32 exec_lo, exec_lo, s26
	s_delay_alu instid0(SALU_CYCLE_1) | instskip(NEXT) | instid1(SALU_CYCLE_1)
	s_and_b32 s7, exec_lo, s7
	s_or_b32 s22, s7, s22
	s_and_not1_b32 s7, s21, exec_lo
	s_and_b32 s21, s23, exec_lo
	s_delay_alu instid0(SALU_CYCLE_1)
	s_or_b32 s21, s7, s21
	s_and_not1_b32 exec_lo, exec_lo, s22
	s_cbranch_execz .LBB4_501
.LBB4_497:                              ;   Parent Loop BB4_36 Depth=1
                                        ;     Parent Loop BB4_489 Depth=2
                                        ; =>    This Inner Loop Header: Depth=3
	s_wait_loadcnt 0x0
	global_load_b128 v[2:5], v[118:119], off th:TH_LOAD_NT
	s_add_co_i32 s24, s24, 1
	s_mov_b32 s7, -1
	s_cmp_lg_u32 s24, 0x2710
	s_mov_b32 s25, -1
                                        ; implicit-def: $vgpr54
	s_cbranch_scc0 .LBB4_499
; %bb.498:                              ;   in Loop: Header=BB4_497 Depth=3
	s_or_b32 s23, s23, exec_lo
	s_wait_xcnt 0x0
	s_and_saveexec_b32 s26, s25
	s_cbranch_execz .LBB4_496
	s_branch .LBB4_500
.LBB4_499:                              ;   in Loop: Header=BB4_497 Depth=3
	s_trap 2
	ds_load_b64 v[40:41], v0
	s_mov_b32 s24, 0
	s_wait_storecnt 0x0
	s_wait_loadcnt_dscnt 0x0
	flat_load_b32 v54, v[40:41] scope:SCOPE_SYS
	s_wait_loadcnt_dscnt 0x0
	global_inv scope:SCOPE_SYS
	v_cmp_eq_u32_e32 vcc_lo, 0, v54
	s_or_not1_b32 s25, vcc_lo, exec_lo
	s_or_b32 s23, s23, exec_lo
	s_wait_xcnt 0x0
	s_and_saveexec_b32 s26, s25
	s_cbranch_execz .LBB4_496
.LBB4_500:                              ;   in Loop: Header=BB4_497 Depth=3
	s_wait_loadcnt 0x0
	v_cmp_eq_u32_e32 vcc_lo, v42, v3
	v_cmp_eq_u32_e64 s7, v42, v5
	s_and_not1_b32 s23, s23, exec_lo
	s_and_b32 s7, vcc_lo, s7
	s_delay_alu instid0(SALU_CYCLE_1)
	s_or_not1_b32 s7, s7, exec_lo
	s_branch .LBB4_496
.LBB4_501:                              ;   in Loop: Header=BB4_489 Depth=2
	s_or_b32 exec_lo, exec_lo, s22
	v_mov_b32_e32 v59, 0
	s_and_saveexec_b32 s7, s21
	s_delay_alu instid0(SALU_CYCLE_1)
	s_xor_b32 s7, exec_lo, s7
	s_cbranch_execz .LBB4_503
; %bb.502:                              ;   in Loop: Header=BB4_489 Depth=2
	v_mov_b32_e32 v59, 1
	s_wait_loadcnt 0x0
	s_wait_storecnt 0x0
	ds_store_b32 v0, v54
	s_trap 2
.LBB4_503:                              ;   in Loop: Header=BB4_489 Depth=2
	s_or_b32 exec_lo, exec_lo, s7
.LBB4_504:                              ;   in Loop: Header=BB4_489 Depth=2
	s_delay_alu instid0(SALU_CYCLE_1)
	s_or_b32 exec_lo, exec_lo, s20
.LBB4_505:                              ;   in Loop: Header=BB4_489 Depth=2
	s_delay_alu instid0(SALU_CYCLE_1) | instskip(SKIP_4) | instid1(VALU_DEP_2)
	s_or_b32 exec_lo, exec_lo, s19
	s_wait_loadcnt 0x0
	v_and_b32_e32 v54, 0xff, v2
	v_dual_mov_b32 v117, 0 :: v_dual_mov_b32 v118, 0
	s_mov_b32 s7, exec_lo
	v_cmpx_ne_u16_e32 0, v54
	s_cbranch_execz .LBB4_515
; %bb.506:                              ;   in Loop: Header=BB4_489 Depth=2
	v_bfe_i32 v119, v2, 0, 8
	v_bfrev_b32_e32 v118, 1
	s_mov_b32 s19, exec_lo
	s_delay_alu instid0(VALU_DEP_2)
	v_cmpx_ne_u16_e32 0xff80, v119
	s_cbranch_execz .LBB4_514
; %bb.507:                              ;   in Loop: Header=BB4_489 Depth=2
	v_and_b32_e32 v118, 0x7c, v2
	v_and_b32_e32 v54, 3, v2
	s_delay_alu instid0(VALU_DEP_2) | instskip(SKIP_1) | instid1(SALU_CYCLE_1)
	v_cmp_ne_u32_e32 vcc_lo, 0x7c, v118
                                        ; implicit-def: $vgpr118
	s_and_saveexec_b32 s20, vcc_lo
	s_xor_b32 s20, exec_lo, s20
	s_cbranch_execz .LBB4_511
; %bb.508:                              ;   in Loop: Header=BB4_489 Depth=2
	v_bfe_u32 v118, v2, 2, 5
	s_mov_b32 s21, exec_lo
	s_delay_alu instid0(VALU_DEP_1)
	v_cmpx_eq_u32_e32 0, v118
; %bb.509:                              ;   in Loop: Header=BB4_489 Depth=2
	v_clz_i32_u32_e32 v54, v54
	s_delay_alu instid0(VALU_DEP_1) | instskip(NEXT) | instid1(VALU_DEP_1)
	v_min_u32_e32 v54, 32, v54
	v_subrev_nc_u32_e32 v118, 29, v54
	s_delay_alu instid0(VALU_DEP_1) | instskip(NEXT) | instid1(VALU_DEP_1)
	v_lshlrev_b64_e32 v[40:41], v118, v[2:3]
	v_dual_sub_nc_u32 v118, 30, v54 :: v_dual_bitop2_b32 v54, 3, v40 bitop3:0x40
; %bb.510:                              ;   in Loop: Header=BB4_489 Depth=2
	s_or_b32 exec_lo, exec_lo, s21
	v_lshlrev_b32_e32 v3, 24, v2
                                        ; implicit-def: $vgpr119
	s_delay_alu instid0(VALU_DEP_1) | instskip(NEXT) | instid1(VALU_DEP_1)
	v_and_b32_e32 v3, 0x80000000, v3
	v_lshl_add_u32 v3, v118, 23, v3
	s_delay_alu instid0(VALU_DEP_1) | instskip(NEXT) | instid1(VALU_DEP_1)
	v_lshl_or_b32 v3, v54, 21, v3
                                        ; implicit-def: $vgpr54
	v_add_nc_u32_e32 v118, 0x38000000, v3
.LBB4_511:                              ;   in Loop: Header=BB4_489 Depth=2
	s_and_not1_saveexec_b32 s20, s20
; %bb.512:                              ;   in Loop: Header=BB4_489 Depth=2
	v_cmp_lt_i16_e32 vcc_lo, -1, v119
	v_cndmask_b32_e32 v3, 0xff800000, v21, vcc_lo
	v_cmp_eq_u32_e32 vcc_lo, 0, v54
	s_delay_alu instid0(VALU_DEP_2)
	v_cndmask_b32_e32 v118, 0x7f800001, v3, vcc_lo
; %bb.513:                              ;   in Loop: Header=BB4_489 Depth=2
	s_or_b32 exec_lo, exec_lo, s20
.LBB4_514:                              ;   in Loop: Header=BB4_489 Depth=2
	s_delay_alu instid0(SALU_CYCLE_1)
	s_or_b32 exec_lo, exec_lo, s19
.LBB4_515:                              ;   in Loop: Header=BB4_489 Depth=2
	s_delay_alu instid0(SALU_CYCLE_1) | instskip(SKIP_2) | instid1(VALU_DEP_1)
	s_or_b32 exec_lo, exec_lo, s7
	v_lshlrev_b32_e32 v46, 3, v112
	s_mov_b32 s7, exec_lo
	v_alignbit_b32 v54, v45, v30, v46
	s_delay_alu instid0(VALU_DEP_1) | instskip(NEXT) | instid1(VALU_DEP_1)
	v_and_b32_e32 v3, 0xff, v54
	v_cmpx_ne_u16_e32 0, v3
	s_cbranch_execz .LBB4_525
; %bb.516:                              ;   in Loop: Header=BB4_489 Depth=2
	v_bfe_i32 v30, v54, 0, 8
	v_bfrev_b32_e32 v117, 1
	s_mov_b32 s19, exec_lo
	s_delay_alu instid0(VALU_DEP_2)
	v_cmpx_ne_u16_e32 0xff80, v30
	s_cbranch_execz .LBB4_524
; %bb.517:                              ;   in Loop: Header=BB4_489 Depth=2
	v_and_b32_e32 v117, 0x7c, v54
	v_and_b32_e32 v3, 3, v54
	s_delay_alu instid0(VALU_DEP_2) | instskip(SKIP_1) | instid1(SALU_CYCLE_1)
	v_cmp_ne_u32_e32 vcc_lo, 0x7c, v117
                                        ; implicit-def: $vgpr117
	s_and_saveexec_b32 s20, vcc_lo
	s_xor_b32 s20, exec_lo, s20
	s_cbranch_execz .LBB4_521
; %bb.518:                              ;   in Loop: Header=BB4_489 Depth=2
	v_bfe_u32 v30, v54, 2, 5
	s_mov_b32 s21, exec_lo
	s_delay_alu instid0(VALU_DEP_1)
	v_cmpx_eq_u32_e32 0, v30
; %bb.519:                              ;   in Loop: Header=BB4_489 Depth=2
	v_clz_i32_u32_e32 v3, v3
	s_delay_alu instid0(VALU_DEP_1) | instskip(NEXT) | instid1(VALU_DEP_1)
	v_min_u32_e32 v3, 32, v3
	v_subrev_nc_u32_e32 v30, 29, v3
	s_delay_alu instid0(VALU_DEP_1) | instskip(NEXT) | instid1(VALU_DEP_1)
	v_lshlrev_b64_e32 v[40:41], v30, v[54:55]
	v_dual_sub_nc_u32 v30, 30, v3 :: v_dual_bitop2_b32 v3, 3, v40 bitop3:0x40
; %bb.520:                              ;   in Loop: Header=BB4_489 Depth=2
	s_or_b32 exec_lo, exec_lo, s21
	v_lshlrev_b32_e32 v117, 24, v54
	s_delay_alu instid0(VALU_DEP_1) | instskip(NEXT) | instid1(VALU_DEP_1)
	v_and_b32_e32 v117, 0x80000000, v117
	v_lshl_add_u32 v30, v30, 23, v117
	s_delay_alu instid0(VALU_DEP_1) | instskip(NEXT) | instid1(VALU_DEP_1)
	v_lshl_or_b32 v3, v3, 21, v30
                                        ; implicit-def: $vgpr30
	v_add_nc_u32_e32 v117, 0x38000000, v3
                                        ; implicit-def: $vgpr3
.LBB4_521:                              ;   in Loop: Header=BB4_489 Depth=2
	s_and_not1_saveexec_b32 s20, s20
; %bb.522:                              ;   in Loop: Header=BB4_489 Depth=2
	v_cmp_lt_i16_e32 vcc_lo, -1, v30
	v_cndmask_b32_e32 v30, 0xff800000, v21, vcc_lo
	v_cmp_eq_u32_e32 vcc_lo, 0, v3
	s_delay_alu instid0(VALU_DEP_2)
	v_cndmask_b32_e32 v117, 0x7f800001, v30, vcc_lo
; %bb.523:                              ;   in Loop: Header=BB4_489 Depth=2
	s_or_b32 exec_lo, exec_lo, s20
.LBB4_524:                              ;   in Loop: Header=BB4_489 Depth=2
	s_delay_alu instid0(SALU_CYCLE_1)
	s_or_b32 exec_lo, exec_lo, s19
.LBB4_525:                              ;   in Loop: Header=BB4_489 Depth=2
	s_delay_alu instid0(SALU_CYCLE_1) | instskip(NEXT) | instid1(VALU_DEP_1)
	s_or_b32 exec_lo, exec_lo, s7
	v_dual_mul_f32 v30, v118, v117 :: v_dual_mov_b32 v41, v55
	v_mov_b32_e32 v119, v55
                                        ; implicit-def: $vgpr117
	s_mov_b32 s7, exec_lo
	s_delay_alu instid0(VALU_DEP_2) | instskip(SKIP_2) | instid1(VALU_DEP_3)
	v_and_b32_e32 v40, 0x7f800000, v30
	v_and_b32_e32 v118, 0x7fffff, v30
	v_lshrrev_b32_e32 v3, 24, v30
	v_cmpx_ne_u64_e32 0x7f800000, v[40:41]
	s_xor_b32 s19, exec_lo, s7
	s_cbranch_execz .LBB4_539
; %bb.526:                              ;   in Loop: Header=BB4_489 Depth=2
	v_and_b32_e32 v40, 0x7fffffff, v30
	v_mov_b32_e32 v41, v55
	v_and_b32_e32 v3, 0x80, v3
                                        ; implicit-def: $vgpr117
	s_mov_b32 s7, exec_lo
	s_delay_alu instid0(VALU_DEP_2)
	v_cmpx_gt_u64_e32 0x47600001, v[40:41]
	s_xor_b32 s20, exec_lo, s7
	s_cbranch_execz .LBB4_536
; %bb.527:                              ;   in Loop: Header=BB4_489 Depth=2
	v_mov_b32_e32 v117, 0
	s_mov_b32 s21, exec_lo
	v_cmpx_ne_u32_e32 0, v30
	s_cbranch_execz .LBB4_535
; %bb.528:                              ;   in Loop: Header=BB4_489 Depth=2
	v_bfe_u32 v30, v30, 23, 8
	v_or_b32_e32 v43, 0x800000, v118
	s_delay_alu instid0(VALU_DEP_2) | instskip(SKIP_1) | instid1(VALU_DEP_2)
	v_sub_nc_u32_e32 v117, 0x71, v30
	v_cmp_gt_u32_e32 vcc_lo, 0x72, v30
	v_cndmask_b32_e32 v117, 0, v117, vcc_lo
	v_cmp_eq_u32_e32 vcc_lo, 0, v30
	v_cndmask_b32_e32 v118, v43, v118, vcc_lo
	s_delay_alu instid0(VALU_DEP_3) | instskip(NEXT) | instid1(VALU_DEP_1)
	v_cndmask_b32_e64 v117, v117, 0x70, vcc_lo
	v_dual_add_nc_u32 v40, 21, v117 :: v_dual_add_nc_u32 v47, 20, v117
	s_delay_alu instid0(VALU_DEP_1) | instskip(NEXT) | instid1(VALU_DEP_2)
	v_lshlrev_b64_e64 v[40:41], v40, -1
	v_lshlrev_b64_e64 v[62:63], v47, 1
	s_delay_alu instid0(VALU_DEP_2) | instskip(SKIP_1) | instid1(VALU_DEP_4)
	v_bfi_b32 v40, v40, 0, v118
	v_lshrrev_b64 v[118:119], v117, v[118:119]
	v_bfi_b32 v41, v41, 0, 0
	s_delay_alu instid0(VALU_DEP_1) | instskip(NEXT) | instid1(VALU_DEP_3)
	v_cmp_eq_u64_e64 s7, v[40:41], v[62:63]
	v_mov_b64_e32 v[40:41], v[118:119]
	s_and_saveexec_b32 s22, s7
; %bb.529:                              ;   in Loop: Header=BB4_489 Depth=2
	v_bfe_u32 v40, v118, 21, 1
	v_mov_b32_e32 v41, v55
	s_delay_alu instid0(VALU_DEP_1) | instskip(NEXT) | instid1(VALU_DEP_1)
	v_add_nc_u64_e32 v[40:41], v[118:119], v[40:41]
	v_add_nc_u64_e32 v[40:41], -1, v[40:41]
; %bb.530:                              ;   in Loop: Header=BB4_489 Depth=2
	s_or_b32 exec_lo, exec_lo, s22
	v_add_nc_u32_e32 v30, 0xffffff81, v30
	v_lshrrev_b32_e32 v119, 23, v118
	s_mov_b32 s7, exec_lo
	s_delay_alu instid0(VALU_DEP_2) | instskip(NEXT) | instid1(VALU_DEP_1)
	v_cndmask_b32_e64 v30, v30, 0xffffff82, vcc_lo
	v_add3_u32 v117, v117, v30, v119
	v_and_b32_e32 v30, 0x1fffff, v40
	s_delay_alu instid0(VALU_DEP_2) | instskip(NEXT) | instid1(VALU_DEP_2)
	v_dual_mov_b32 v119, v55 :: v_dual_add_nc_u32 v40, 14, v117
	v_add_nc_u32_e32 v118, v30, v118
                                        ; implicit-def: $vgpr30
	s_delay_alu instid0(VALU_DEP_2)
	v_cmpx_ne_u32_e32 0, v40
	s_xor_b32 s7, exec_lo, s7
; %bb.531:                              ;   in Loop: Header=BB4_489 Depth=2
	s_delay_alu instid0(VALU_DEP_2) | instskip(SKIP_2) | instid1(VALU_DEP_2)
	v_cmp_lt_u64_e32 vcc_lo, 0xffffff, v[118:119]
	v_add_nc_u32_e32 v30, 15, v117
	v_cndmask_b32_e64 v117, 0, 1, vcc_lo
	v_cndmask_b32_e32 v30, v40, v30, vcc_lo
	s_delay_alu instid0(VALU_DEP_2)
	v_lshrrev_b64 v[118:119], v117, v[118:119]
; %bb.532:                              ;   in Loop: Header=BB4_489 Depth=2
	s_and_not1_saveexec_b32 s7, s7
; %bb.533:                              ;   in Loop: Header=BB4_489 Depth=2
	s_delay_alu instid0(VALU_DEP_1)
	v_bfe_u32 v30, v118, 23, 1
; %bb.534:                              ;   in Loop: Header=BB4_489 Depth=2
	s_or_b32 exec_lo, exec_lo, s7
	s_delay_alu instid0(VALU_DEP_2) | instskip(NEXT) | instid1(VALU_DEP_2)
	v_lshrrev_b64 v[118:119], 21, v[118:119]
	v_cmp_gt_i32_e32 vcc_lo, 32, v30
	v_min_i32_e32 v117, 31, v30
	v_cmp_eq_u32_e64 s7, 0, v30
	s_delay_alu instid0(VALU_DEP_2) | instskip(SKIP_1) | instid1(VALU_DEP_2)
	v_dual_cndmask_b32 v119, 0, v119, vcc_lo :: v_dual_lshlrev_b32 v117, 2, v117
	v_cndmask_b32_e32 v118, 3, v118, vcc_lo
	v_and_b32_e32 v117, 0xfc, v117
	s_delay_alu instid0(VALU_DEP_2) | instskip(NEXT) | instid1(VALU_DEP_2)
	v_cmp_eq_u64_e32 vcc_lo, 0, v[118:119]
	v_and_or_b32 v30, v118, 3, v117
	s_and_b32 s7, s7, vcc_lo
	s_delay_alu instid0(VALU_DEP_1) | instid1(SALU_CYCLE_1)
	v_cndmask_b32_e64 v30, v30, 0, s7
	s_delay_alu instid0(VALU_DEP_1)
	v_or_b32_e32 v117, v30, v3
.LBB4_535:                              ;   in Loop: Header=BB4_489 Depth=2
	s_or_b32 exec_lo, exec_lo, s21
                                        ; implicit-def: $vgpr3
.LBB4_536:                              ;   in Loop: Header=BB4_489 Depth=2
	s_and_not1_saveexec_b32 s7, s20
; %bb.537:                              ;   in Loop: Header=BB4_489 Depth=2
	v_or_b32_e32 v117, 0x7b, v3
; %bb.538:                              ;   in Loop: Header=BB4_489 Depth=2
	s_or_b32 exec_lo, exec_lo, s7
                                        ; implicit-def: $vgpr30
                                        ; implicit-def: $vgpr118_vgpr119
                                        ; implicit-def: $vgpr3
.LBB4_539:                              ;   in Loop: Header=BB4_489 Depth=2
	s_and_not1_saveexec_b32 s7, s19
	s_cbranch_execz .LBB4_545
; %bb.540:                              ;   in Loop: Header=BB4_489 Depth=2
	s_mov_b32 s19, exec_lo
                                        ; implicit-def: $vgpr117
	v_cmpx_ne_u64_e32 0, v[118:119]
	s_xor_b32 s19, exec_lo, s19
; %bb.541:                              ;   in Loop: Header=BB4_489 Depth=2
	v_or_b32_e32 v117, 0x7f, v3
                                        ; implicit-def: $vgpr30
; %bb.542:                              ;   in Loop: Header=BB4_489 Depth=2
	s_and_not1_saveexec_b32 s19, s19
; %bb.543:                              ;   in Loop: Header=BB4_489 Depth=2
	v_cmp_lt_i32_e32 vcc_lo, -1, v30
	v_cndmask_b32_e32 v117, 0xfc, v58, vcc_lo
; %bb.544:                              ;   in Loop: Header=BB4_489 Depth=2
	s_or_b32 exec_lo, exec_lo, s19
.LBB4_545:                              ;   in Loop: Header=BB4_489 Depth=2
	s_delay_alu instid0(SALU_CYCLE_1) | instskip(SKIP_3) | instid1(VALU_DEP_2)
	s_or_b32 exec_lo, exec_lo, s7
	v_lshrrev_b16 v118, 8, v2
	v_dual_mov_b32 v3, 0 :: v_dual_mov_b32 v30, 0
	s_mov_b32 s7, exec_lo
	v_cmpx_ne_u16_e32 0, v118
	s_cbranch_execz .LBB4_555
; %bb.546:                              ;   in Loop: Header=BB4_489 Depth=2
	v_bfrev_b32_e32 v30, 1
	s_mov_b32 s19, exec_lo
	v_cmpx_ne_u16_e32 0x80, v118
	s_cbranch_execz .LBB4_554
; %bb.547:                              ;   in Loop: Header=BB4_489 Depth=2
	v_and_b32_e32 v40, 0xffff, v118
	s_delay_alu instid0(VALU_DEP_1) | instskip(SKIP_1) | instid1(VALU_DEP_2)
	v_and_b32_e32 v30, 0x7c, v40
	v_and_b32_e32 v119, 3, v40
	v_cmp_ne_u32_e32 vcc_lo, 0x7c, v30
                                        ; implicit-def: $vgpr30
	s_and_saveexec_b32 s20, vcc_lo
	s_delay_alu instid0(SALU_CYCLE_1)
	s_xor_b32 s20, exec_lo, s20
	s_cbranch_execz .LBB4_551
; %bb.548:                              ;   in Loop: Header=BB4_489 Depth=2
	v_bfe_u32 v30, v40, 2, 5
	s_mov_b32 s21, exec_lo
	s_delay_alu instid0(VALU_DEP_1)
	v_cmpx_eq_u32_e32 0, v30
	s_cbranch_execz .LBB4_550
; %bb.549:                              ;   in Loop: Header=BB4_489 Depth=2
	v_clz_i32_u32_e32 v30, v119
	s_delay_alu instid0(VALU_DEP_1) | instskip(SKIP_1) | instid1(VALU_DEP_2)
	v_min_u32_e32 v30, 32, v30
	v_mov_b32_e32 v119, v55
	v_subrev_nc_u32_e32 v40, 29, v30
	v_sub_nc_u32_e32 v30, 30, v30
	s_delay_alu instid0(VALU_DEP_2) | instskip(NEXT) | instid1(VALU_DEP_1)
	v_lshlrev_b64_e32 v[118:119], v40, v[118:119]
	v_and_b32_e32 v119, 3, v118
.LBB4_550:                              ;   in Loop: Header=BB4_489 Depth=2
	s_or_b32 exec_lo, exec_lo, s21
	v_lshlrev_b32_e32 v118, 16, v2
	s_delay_alu instid0(VALU_DEP_1) | instskip(NEXT) | instid1(VALU_DEP_1)
	v_and_b32_e32 v118, 0x80000000, v118
	v_lshl_add_u32 v30, v30, 23, v118
	s_delay_alu instid0(VALU_DEP_1) | instskip(NEXT) | instid1(VALU_DEP_1)
	v_lshl_or_b32 v30, v119, 21, v30
                                        ; implicit-def: $vgpr119
	v_add_nc_u32_e32 v30, 0x38000000, v30
.LBB4_551:                              ;   in Loop: Header=BB4_489 Depth=2
	s_and_not1_saveexec_b32 s20, s20
; %bb.552:                              ;   in Loop: Header=BB4_489 Depth=2
	v_cmp_lt_i16_e32 vcc_lo, -1, v2
	v_cndmask_b32_e32 v30, 0xff800000, v21, vcc_lo
	v_cmp_eq_u32_e32 vcc_lo, 0, v119
	s_delay_alu instid0(VALU_DEP_2)
	v_cndmask_b32_e32 v30, 0x7f800001, v30, vcc_lo
; %bb.553:                              ;   in Loop: Header=BB4_489 Depth=2
	s_or_b32 exec_lo, exec_lo, s20
.LBB4_554:                              ;   in Loop: Header=BB4_489 Depth=2
	s_delay_alu instid0(SALU_CYCLE_1)
	s_or_b32 exec_lo, exec_lo, s19
.LBB4_555:                              ;   in Loop: Header=BB4_489 Depth=2
	s_delay_alu instid0(SALU_CYCLE_1) | instskip(SKIP_2) | instid1(VALU_DEP_1)
	s_or_b32 exec_lo, exec_lo, s7
	v_lshrrev_b16 v118, 8, v54
	s_mov_b32 s7, exec_lo
	v_cmpx_ne_u16_e32 0, v118
	s_cbranch_execz .LBB4_565
; %bb.556:                              ;   in Loop: Header=BB4_489 Depth=2
	v_bfrev_b32_e32 v3, 1
	s_mov_b32 s19, exec_lo
	v_cmpx_ne_u16_e32 0x80, v118
	s_cbranch_execz .LBB4_564
; %bb.557:                              ;   in Loop: Header=BB4_489 Depth=2
	v_and_b32_e32 v40, 0xffff, v118
	s_delay_alu instid0(VALU_DEP_1) | instskip(SKIP_1) | instid1(VALU_DEP_2)
	v_and_b32_e32 v3, 0x7c, v40
	v_and_b32_e32 v119, 3, v40
	v_cmp_ne_u32_e32 vcc_lo, 0x7c, v3
                                        ; implicit-def: $vgpr3
	s_and_saveexec_b32 s20, vcc_lo
	s_delay_alu instid0(SALU_CYCLE_1)
	s_xor_b32 s20, exec_lo, s20
	s_cbranch_execz .LBB4_561
; %bb.558:                              ;   in Loop: Header=BB4_489 Depth=2
	v_bfe_u32 v3, v40, 2, 5
	s_mov_b32 s21, exec_lo
	s_delay_alu instid0(VALU_DEP_1)
	v_cmpx_eq_u32_e32 0, v3
	s_cbranch_execz .LBB4_560
; %bb.559:                              ;   in Loop: Header=BB4_489 Depth=2
	v_clz_i32_u32_e32 v3, v119
	s_delay_alu instid0(VALU_DEP_1) | instskip(SKIP_1) | instid1(VALU_DEP_2)
	v_min_u32_e32 v3, 32, v3
	v_mov_b32_e32 v119, v55
	v_subrev_nc_u32_e32 v40, 29, v3
	v_sub_nc_u32_e32 v3, 30, v3
	s_delay_alu instid0(VALU_DEP_2) | instskip(NEXT) | instid1(VALU_DEP_1)
	v_lshlrev_b64_e32 v[118:119], v40, v[118:119]
	v_and_b32_e32 v119, 3, v118
.LBB4_560:                              ;   in Loop: Header=BB4_489 Depth=2
	s_or_b32 exec_lo, exec_lo, s21
	v_lshlrev_b32_e32 v118, 16, v54
	s_delay_alu instid0(VALU_DEP_1) | instskip(NEXT) | instid1(VALU_DEP_1)
	v_and_b32_e32 v118, 0x80000000, v118
	v_lshl_add_u32 v3, v3, 23, v118
	s_delay_alu instid0(VALU_DEP_1) | instskip(NEXT) | instid1(VALU_DEP_1)
	v_lshl_or_b32 v3, v119, 21, v3
                                        ; implicit-def: $vgpr119
	v_add_nc_u32_e32 v3, 0x38000000, v3
.LBB4_561:                              ;   in Loop: Header=BB4_489 Depth=2
	s_and_not1_saveexec_b32 s20, s20
; %bb.562:                              ;   in Loop: Header=BB4_489 Depth=2
	v_cmp_lt_i16_e32 vcc_lo, -1, v54
	v_cndmask_b32_e32 v3, 0xff800000, v21, vcc_lo
	v_cmp_eq_u32_e32 vcc_lo, 0, v119
	s_delay_alu instid0(VALU_DEP_2)
	v_cndmask_b32_e32 v3, 0x7f800001, v3, vcc_lo
; %bb.563:                              ;   in Loop: Header=BB4_489 Depth=2
	s_or_b32 exec_lo, exec_lo, s20
.LBB4_564:                              ;   in Loop: Header=BB4_489 Depth=2
	s_delay_alu instid0(SALU_CYCLE_1)
	s_or_b32 exec_lo, exec_lo, s19
.LBB4_565:                              ;   in Loop: Header=BB4_489 Depth=2
	s_delay_alu instid0(SALU_CYCLE_1) | instskip(NEXT) | instid1(VALU_DEP_1)
	s_or_b32 exec_lo, exec_lo, s7
	v_dual_mul_f32 v30, v30, v3 :: v_dual_mov_b32 v41, v55
	v_mov_b32_e32 v119, v55
                                        ; implicit-def: $vgpr43
	s_mov_b32 s7, exec_lo
	s_delay_alu instid0(VALU_DEP_2) | instskip(SKIP_2) | instid1(VALU_DEP_3)
	v_and_b32_e32 v40, 0x7f800000, v30
	v_and_b32_e32 v118, 0x7fffff, v30
	v_lshrrev_b32_e32 v3, 24, v30
	v_cmpx_ne_u64_e32 0x7f800000, v[40:41]
	s_xor_b32 s19, exec_lo, s7
	s_cbranch_execz .LBB4_579
; %bb.566:                              ;   in Loop: Header=BB4_489 Depth=2
	v_and_b32_e32 v40, 0x7fffffff, v30
	v_mov_b32_e32 v41, v55
	v_and_b32_e32 v3, 0x80, v3
                                        ; implicit-def: $vgpr43
	s_mov_b32 s7, exec_lo
	s_delay_alu instid0(VALU_DEP_2)
	v_cmpx_gt_u64_e32 0x47600001, v[40:41]
	s_xor_b32 s20, exec_lo, s7
	s_cbranch_execz .LBB4_576
; %bb.567:                              ;   in Loop: Header=BB4_489 Depth=2
	v_mov_b32_e32 v43, 0
	s_mov_b32 s21, exec_lo
	v_cmpx_ne_u32_e32 0, v30
	s_cbranch_execz .LBB4_575
; %bb.568:                              ;   in Loop: Header=BB4_489 Depth=2
	v_bfe_u32 v30, v30, 23, 8
	v_or_b32_e32 v47, 0x800000, v118
	s_delay_alu instid0(VALU_DEP_2) | instskip(SKIP_1) | instid1(VALU_DEP_2)
	v_sub_nc_u32_e32 v40, 0x71, v30
	v_cmp_gt_u32_e32 vcc_lo, 0x72, v30
	v_cndmask_b32_e32 v40, 0, v40, vcc_lo
	v_cmp_eq_u32_e32 vcc_lo, 0, v30
	s_delay_alu instid0(VALU_DEP_2) | instskip(NEXT) | instid1(VALU_DEP_1)
	v_cndmask_b32_e64 v43, v40, 0x70, vcc_lo
	v_dual_cndmask_b32 v118, v47, v118, vcc_lo :: v_dual_add_nc_u32 v40, 21, v43
	v_add_nc_u32_e32 v61, 20, v43
	s_delay_alu instid0(VALU_DEP_2) | instskip(NEXT) | instid1(VALU_DEP_2)
	v_lshlrev_b64_e64 v[40:41], v40, -1
	v_lshlrev_b64_e64 v[62:63], v61, 1
	s_delay_alu instid0(VALU_DEP_2) | instskip(SKIP_1) | instid1(VALU_DEP_4)
	v_bfi_b32 v40, v40, 0, v118
	v_lshrrev_b64 v[118:119], v43, v[118:119]
	v_bfi_b32 v41, v41, 0, 0
	s_delay_alu instid0(VALU_DEP_1) | instskip(NEXT) | instid1(VALU_DEP_3)
	v_cmp_eq_u64_e64 s7, v[40:41], v[62:63]
	v_mov_b64_e32 v[40:41], v[118:119]
	s_and_saveexec_b32 s22, s7
; %bb.569:                              ;   in Loop: Header=BB4_489 Depth=2
	v_bfe_u32 v40, v118, 21, 1
	v_mov_b32_e32 v41, v55
	s_delay_alu instid0(VALU_DEP_1) | instskip(NEXT) | instid1(VALU_DEP_1)
	v_add_nc_u64_e32 v[40:41], v[118:119], v[40:41]
	v_add_nc_u64_e32 v[40:41], -1, v[40:41]
; %bb.570:                              ;   in Loop: Header=BB4_489 Depth=2
	s_or_b32 exec_lo, exec_lo, s22
	v_add_nc_u32_e32 v30, 0xffffff81, v30
	v_lshrrev_b32_e32 v119, 23, v118
	s_mov_b32 s7, exec_lo
	s_delay_alu instid0(VALU_DEP_2) | instskip(NEXT) | instid1(VALU_DEP_1)
	v_cndmask_b32_e64 v30, v30, 0xffffff82, vcc_lo
	v_add3_u32 v41, v43, v30, v119
	v_and_b32_e32 v30, 0x1fffff, v40
	s_delay_alu instid0(VALU_DEP_2) | instskip(NEXT) | instid1(VALU_DEP_2)
	v_dual_mov_b32 v119, v55 :: v_dual_add_nc_u32 v40, 14, v41
	v_add_nc_u32_e32 v118, v30, v118
                                        ; implicit-def: $vgpr30
	s_delay_alu instid0(VALU_DEP_2)
	v_cmpx_ne_u32_e32 0, v40
	s_xor_b32 s7, exec_lo, s7
; %bb.571:                              ;   in Loop: Header=BB4_489 Depth=2
	s_delay_alu instid0(VALU_DEP_2) | instskip(SKIP_1) | instid1(VALU_DEP_1)
	v_cmp_lt_u64_e32 vcc_lo, 0xffffff, v[118:119]
	v_add_nc_u32_e32 v30, 15, v41
	v_cndmask_b32_e32 v30, v40, v30, vcc_lo
	v_cndmask_b32_e64 v40, 0, 1, vcc_lo
	s_delay_alu instid0(VALU_DEP_1)
	v_lshrrev_b64 v[118:119], v40, v[118:119]
; %bb.572:                              ;   in Loop: Header=BB4_489 Depth=2
	s_and_not1_saveexec_b32 s7, s7
; %bb.573:                              ;   in Loop: Header=BB4_489 Depth=2
	s_delay_alu instid0(VALU_DEP_1)
	v_bfe_u32 v30, v118, 23, 1
; %bb.574:                              ;   in Loop: Header=BB4_489 Depth=2
	s_or_b32 exec_lo, exec_lo, s7
	s_delay_alu instid0(VALU_DEP_2) | instskip(NEXT) | instid1(VALU_DEP_2)
	v_lshrrev_b64 v[118:119], 21, v[118:119]
	v_cmp_gt_i32_e32 vcc_lo, 32, v30
	v_min_i32_e32 v40, 31, v30
	v_cmp_eq_u32_e64 s7, 0, v30
	s_delay_alu instid0(VALU_DEP_2) | instskip(SKIP_1) | instid1(VALU_DEP_2)
	v_dual_cndmask_b32 v119, 0, v119 :: v_dual_lshlrev_b32 v40, 2, v40
	v_cndmask_b32_e32 v118, 3, v118, vcc_lo
	v_and_b32_e32 v40, 0xfc, v40
	s_delay_alu instid0(VALU_DEP_2) | instskip(NEXT) | instid1(VALU_DEP_2)
	v_cmp_eq_u64_e32 vcc_lo, 0, v[118:119]
	v_and_or_b32 v30, v118, 3, v40
	s_and_b32 s7, s7, vcc_lo
	s_delay_alu instid0(VALU_DEP_1) | instid1(SALU_CYCLE_1)
	v_cndmask_b32_e64 v30, v30, 0, s7
	s_delay_alu instid0(VALU_DEP_1)
	v_or_b32_e32 v43, v30, v3
.LBB4_575:                              ;   in Loop: Header=BB4_489 Depth=2
	s_or_b32 exec_lo, exec_lo, s21
                                        ; implicit-def: $vgpr3
.LBB4_576:                              ;   in Loop: Header=BB4_489 Depth=2
	s_and_not1_saveexec_b32 s7, s20
; %bb.577:                              ;   in Loop: Header=BB4_489 Depth=2
	v_or_b32_e32 v43, 0x7b, v3
; %bb.578:                              ;   in Loop: Header=BB4_489 Depth=2
	s_or_b32 exec_lo, exec_lo, s7
                                        ; implicit-def: $vgpr30
                                        ; implicit-def: $vgpr118_vgpr119
                                        ; implicit-def: $vgpr3
.LBB4_579:                              ;   in Loop: Header=BB4_489 Depth=2
	s_and_not1_saveexec_b32 s7, s19
	s_cbranch_execz .LBB4_585
; %bb.580:                              ;   in Loop: Header=BB4_489 Depth=2
	s_mov_b32 s19, exec_lo
                                        ; implicit-def: $vgpr43
	v_cmpx_ne_u64_e32 0, v[118:119]
	s_xor_b32 s19, exec_lo, s19
; %bb.581:                              ;   in Loop: Header=BB4_489 Depth=2
	v_or_b32_e32 v43, 0x7f, v3
                                        ; implicit-def: $vgpr30
; %bb.582:                              ;   in Loop: Header=BB4_489 Depth=2
	s_and_not1_saveexec_b32 s19, s19
; %bb.583:                              ;   in Loop: Header=BB4_489 Depth=2
	v_cmp_lt_i32_e32 vcc_lo, -1, v30
	v_cndmask_b32_e32 v43, 0xfc, v58, vcc_lo
; %bb.584:                              ;   in Loop: Header=BB4_489 Depth=2
	s_or_b32 exec_lo, exec_lo, s19
.LBB4_585:                              ;   in Loop: Header=BB4_489 Depth=2
	s_delay_alu instid0(SALU_CYCLE_1) | instskip(SKIP_3) | instid1(VALU_DEP_2)
	s_or_b32 exec_lo, exec_lo, s7
	v_dual_lshrrev_b32 v30, 16, v2 :: v_dual_mov_b32 v118, 0
	v_mov_b32_e32 v3, 0
	s_mov_b32 s7, exec_lo
	v_and_b32_e32 v119, 0xff, v30
	s_delay_alu instid0(VALU_DEP_1)
	v_cmpx_ne_u16_e32 0, v119
	s_cbranch_execz .LBB4_595
; %bb.586:                              ;   in Loop: Header=BB4_489 Depth=2
	v_bfrev_b32_e32 v3, 1
	s_mov_b32 s19, exec_lo
	v_cmpx_ne_u16_e32 0x80, v119
	s_cbranch_execz .LBB4_594
; %bb.587:                              ;   in Loop: Header=BB4_489 Depth=2
	v_and_b32_e32 v3, 0x7c0000, v2
	v_bfe_u32 v119, v2, 16, 2
	s_delay_alu instid0(VALU_DEP_2) | instskip(SKIP_1) | instid1(SALU_CYCLE_1)
	v_cmp_ne_u32_e32 vcc_lo, 0x7c0000, v3
                                        ; implicit-def: $vgpr3
	s_and_saveexec_b32 s20, vcc_lo
	s_xor_b32 s20, exec_lo, s20
	s_cbranch_execz .LBB4_591
; %bb.588:                              ;   in Loop: Header=BB4_489 Depth=2
	v_bfe_u32 v3, v2, 18, 5
	s_mov_b32 s21, exec_lo
	s_delay_alu instid0(VALU_DEP_1)
	v_cmpx_eq_u32_e32 0, v3
; %bb.589:                              ;   in Loop: Header=BB4_489 Depth=2
	v_clz_i32_u32_e32 v3, v119
	s_delay_alu instid0(VALU_DEP_1) | instskip(NEXT) | instid1(VALU_DEP_1)
	v_min_u32_e32 v3, 32, v3
	v_subrev_nc_u32_e32 v119, 29, v3
	s_delay_alu instid0(VALU_DEP_1) | instskip(NEXT) | instid1(VALU_DEP_1)
	v_lshlrev_b64_e32 v[40:41], v119, v[30:31]
	v_dual_sub_nc_u32 v3, 30, v3 :: v_dual_bitop2_b32 v119, 3, v40 bitop3:0x40
; %bb.590:                              ;   in Loop: Header=BB4_489 Depth=2
	s_or_b32 exec_lo, exec_lo, s21
	v_lshlrev_b32_e32 v30, 24, v30
	s_delay_alu instid0(VALU_DEP_1) | instskip(NEXT) | instid1(VALU_DEP_1)
	v_and_b32_e32 v30, 0x80000000, v30
	v_lshl_add_u32 v3, v3, 23, v30
                                        ; implicit-def: $vgpr30
	s_delay_alu instid0(VALU_DEP_1) | instskip(NEXT) | instid1(VALU_DEP_1)
	v_lshl_or_b32 v3, v119, 21, v3
                                        ; implicit-def: $vgpr119
	v_add_nc_u32_e32 v3, 0x38000000, v3
.LBB4_591:                              ;   in Loop: Header=BB4_489 Depth=2
	s_and_not1_saveexec_b32 s20, s20
; %bb.592:                              ;   in Loop: Header=BB4_489 Depth=2
	v_bfe_i32 v3, v30, 0, 8
	s_delay_alu instid0(VALU_DEP_1) | instskip(SKIP_2) | instid1(VALU_DEP_2)
	v_cmp_lt_i16_e32 vcc_lo, -1, v3
	v_cndmask_b32_e32 v3, 0xff800000, v21, vcc_lo
	v_cmp_eq_u32_e32 vcc_lo, 0, v119
	v_cndmask_b32_e32 v3, 0x7f800001, v3, vcc_lo
; %bb.593:                              ;   in Loop: Header=BB4_489 Depth=2
	s_or_b32 exec_lo, exec_lo, s20
.LBB4_594:                              ;   in Loop: Header=BB4_489 Depth=2
	s_delay_alu instid0(SALU_CYCLE_1)
	s_or_b32 exec_lo, exec_lo, s19
.LBB4_595:                              ;   in Loop: Header=BB4_489 Depth=2
	s_delay_alu instid0(SALU_CYCLE_1) | instskip(SKIP_2) | instid1(VALU_DEP_1)
	s_or_b32 exec_lo, exec_lo, s7
	v_lshrrev_b32_e32 v30, 16, v54
	s_mov_b32 s7, exec_lo
	v_and_b32_e32 v119, 0xff, v30
	s_delay_alu instid0(VALU_DEP_1)
	v_cmpx_ne_u16_e32 0, v119
	s_cbranch_execz .LBB4_605
; %bb.596:                              ;   in Loop: Header=BB4_489 Depth=2
	v_bfrev_b32_e32 v118, 1
	s_mov_b32 s19, exec_lo
	v_cmpx_ne_u16_e32 0x80, v119
	s_cbranch_execz .LBB4_604
; %bb.597:                              ;   in Loop: Header=BB4_489 Depth=2
	v_and_b32_e32 v118, 0x7c0000, v54
	v_bfe_u32 v119, v54, 16, 2
	s_delay_alu instid0(VALU_DEP_2) | instskip(SKIP_1) | instid1(SALU_CYCLE_1)
	v_cmp_ne_u32_e32 vcc_lo, 0x7c0000, v118
                                        ; implicit-def: $vgpr118
	s_and_saveexec_b32 s20, vcc_lo
	s_xor_b32 s20, exec_lo, s20
	s_cbranch_execz .LBB4_601
; %bb.598:                              ;   in Loop: Header=BB4_489 Depth=2
	v_bfe_u32 v118, v54, 18, 5
	v_lshrrev_b32_e32 v30, 16, v54
	s_mov_b32 s21, exec_lo
	s_delay_alu instid0(VALU_DEP_2)
	v_cmpx_eq_u32_e32 0, v118
; %bb.599:                              ;   in Loop: Header=BB4_489 Depth=2
	v_clz_i32_u32_e32 v118, v119
	s_delay_alu instid0(VALU_DEP_1) | instskip(NEXT) | instid1(VALU_DEP_1)
	v_min_u32_e32 v118, 32, v118
	v_subrev_nc_u32_e32 v119, 29, v118
	s_delay_alu instid0(VALU_DEP_1) | instskip(NEXT) | instid1(VALU_DEP_1)
	v_lshlrev_b64_e32 v[40:41], v119, v[30:31]
	v_dual_sub_nc_u32 v118, 30, v118 :: v_dual_bitop2_b32 v119, 3, v40 bitop3:0x40
; %bb.600:                              ;   in Loop: Header=BB4_489 Depth=2
	s_or_b32 exec_lo, exec_lo, s21
	v_lshlrev_b32_e32 v30, 24, v30
	s_delay_alu instid0(VALU_DEP_1) | instskip(NEXT) | instid1(VALU_DEP_1)
	v_and_b32_e32 v30, 0x80000000, v30
	v_lshl_add_u32 v30, v118, 23, v30
	s_delay_alu instid0(VALU_DEP_1) | instskip(NEXT) | instid1(VALU_DEP_1)
	v_lshl_or_b32 v30, v119, 21, v30
                                        ; implicit-def: $vgpr119
	v_add_nc_u32_e32 v118, 0x38000000, v30
                                        ; implicit-def: $vgpr30
.LBB4_601:                              ;   in Loop: Header=BB4_489 Depth=2
	s_and_not1_saveexec_b32 s20, s20
; %bb.602:                              ;   in Loop: Header=BB4_489 Depth=2
	v_bfe_i32 v30, v30, 0, 8
	s_delay_alu instid0(VALU_DEP_1) | instskip(SKIP_2) | instid1(VALU_DEP_2)
	v_cmp_lt_i16_e32 vcc_lo, -1, v30
	v_cndmask_b32_e32 v30, 0xff800000, v21, vcc_lo
	v_cmp_eq_u32_e32 vcc_lo, 0, v119
	v_cndmask_b32_e32 v118, 0x7f800001, v30, vcc_lo
; %bb.603:                              ;   in Loop: Header=BB4_489 Depth=2
	s_or_b32 exec_lo, exec_lo, s20
.LBB4_604:                              ;   in Loop: Header=BB4_489 Depth=2
	s_delay_alu instid0(SALU_CYCLE_1)
	s_or_b32 exec_lo, exec_lo, s19
.LBB4_605:                              ;   in Loop: Header=BB4_489 Depth=2
	s_delay_alu instid0(SALU_CYCLE_1) | instskip(NEXT) | instid1(VALU_DEP_1)
	s_or_b32 exec_lo, exec_lo, s7
	v_mul_f32_e32 v30, v3, v118
	v_dual_mov_b32 v41, v55 :: v_dual_mov_b32 v119, v55
	s_delay_alu instid0(VALU_DEP_2) | instskip(SKIP_2) | instid1(VALU_DEP_3)
	v_and_b32_e32 v40, 0x7f800000, v30
	v_and_b32_e32 v118, 0x7fffff, v30
	v_lshrrev_b32_e32 v3, 24, v30
	v_cmp_ne_u64_e32 vcc_lo, 0x7f800000, v[40:41]
                                        ; implicit-def: $vgpr40
	s_and_saveexec_b32 s7, vcc_lo
	s_delay_alu instid0(SALU_CYCLE_1)
	s_xor_b32 s19, exec_lo, s7
	s_cbranch_execz .LBB4_619
; %bb.606:                              ;   in Loop: Header=BB4_489 Depth=2
	v_and_b32_e32 v40, 0x7fffffff, v30
	v_mov_b32_e32 v41, v55
	v_and_b32_e32 v3, 0x80, v3
	s_delay_alu instid0(VALU_DEP_2) | instskip(SKIP_1) | instid1(SALU_CYCLE_1)
	v_cmp_gt_u64_e32 vcc_lo, 0x47600001, v[40:41]
                                        ; implicit-def: $vgpr40
	s_and_saveexec_b32 s7, vcc_lo
	s_xor_b32 s20, exec_lo, s7
	s_cbranch_execz .LBB4_616
; %bb.607:                              ;   in Loop: Header=BB4_489 Depth=2
	v_mov_b32_e32 v40, 0
	s_mov_b32 s21, exec_lo
	v_cmpx_ne_u32_e32 0, v30
	s_cbranch_execz .LBB4_615
; %bb.608:                              ;   in Loop: Header=BB4_489 Depth=2
	v_bfe_u32 v30, v30, 23, 8
	v_or_b32_e32 v41, 0x800000, v118
	s_delay_alu instid0(VALU_DEP_2) | instskip(SKIP_2) | instid1(VALU_DEP_2)
	v_cmp_gt_u32_e64 s7, 0x72, v30
	v_sub_nc_u32_e32 v40, 0x71, v30
	v_cmp_eq_u32_e32 vcc_lo, 0, v30
	v_dual_cndmask_b32 v40, 0, v40, s7 :: v_dual_cndmask_b32 v118, v41, v118, vcc_lo
	s_delay_alu instid0(VALU_DEP_1) | instskip(NEXT) | instid1(VALU_DEP_1)
	v_cndmask_b32_e64 v47, v40, 0x70, vcc_lo
	v_dual_add_nc_u32 v40, 21, v47 :: v_dual_add_nc_u32 v61, 20, v47
	s_delay_alu instid0(VALU_DEP_1) | instskip(NEXT) | instid1(VALU_DEP_2)
	v_lshlrev_b64_e64 v[40:41], v40, -1
	v_lshlrev_b64_e64 v[62:63], v61, 1
	s_delay_alu instid0(VALU_DEP_2) | instskip(SKIP_1) | instid1(VALU_DEP_4)
	v_bfi_b32 v40, v40, 0, v118
	v_lshrrev_b64 v[118:119], v47, v[118:119]
	v_bfi_b32 v41, v41, 0, 0
	s_delay_alu instid0(VALU_DEP_1) | instskip(NEXT) | instid1(VALU_DEP_3)
	v_cmp_eq_u64_e64 s7, v[40:41], v[62:63]
	v_mov_b64_e32 v[40:41], v[118:119]
	s_and_saveexec_b32 s22, s7
; %bb.609:                              ;   in Loop: Header=BB4_489 Depth=2
	v_bfe_u32 v40, v118, 21, 1
	v_mov_b32_e32 v41, v55
	s_delay_alu instid0(VALU_DEP_1) | instskip(NEXT) | instid1(VALU_DEP_1)
	v_add_nc_u64_e32 v[40:41], v[118:119], v[40:41]
	v_add_nc_u64_e32 v[40:41], -1, v[40:41]
; %bb.610:                              ;   in Loop: Header=BB4_489 Depth=2
	s_or_b32 exec_lo, exec_lo, s22
	v_add_nc_u32_e32 v30, 0xffffff81, v30
	v_lshrrev_b32_e32 v119, 23, v118
	s_mov_b32 s7, exec_lo
	s_delay_alu instid0(VALU_DEP_2) | instskip(NEXT) | instid1(VALU_DEP_1)
	v_cndmask_b32_e64 v30, v30, 0xffffff82, vcc_lo
	v_add3_u32 v41, v47, v30, v119
	v_and_b32_e32 v30, 0x1fffff, v40
	s_delay_alu instid0(VALU_DEP_2) | instskip(NEXT) | instid1(VALU_DEP_2)
	v_dual_mov_b32 v119, v55 :: v_dual_add_nc_u32 v40, 14, v41
	v_add_nc_u32_e32 v118, v30, v118
                                        ; implicit-def: $vgpr30
	s_delay_alu instid0(VALU_DEP_2)
	v_cmpx_ne_u32_e32 0, v40
	s_xor_b32 s7, exec_lo, s7
; %bb.611:                              ;   in Loop: Header=BB4_489 Depth=2
	s_delay_alu instid0(VALU_DEP_2) | instskip(SKIP_1) | instid1(VALU_DEP_1)
	v_cmp_lt_u64_e32 vcc_lo, 0xffffff, v[118:119]
	v_add_nc_u32_e32 v30, 15, v41
	v_cndmask_b32_e32 v30, v40, v30, vcc_lo
	v_cndmask_b32_e64 v40, 0, 1, vcc_lo
	s_delay_alu instid0(VALU_DEP_1)
	v_lshrrev_b64 v[118:119], v40, v[118:119]
; %bb.612:                              ;   in Loop: Header=BB4_489 Depth=2
	s_and_not1_saveexec_b32 s7, s7
; %bb.613:                              ;   in Loop: Header=BB4_489 Depth=2
	s_delay_alu instid0(VALU_DEP_1)
	v_bfe_u32 v30, v118, 23, 1
; %bb.614:                              ;   in Loop: Header=BB4_489 Depth=2
	s_or_b32 exec_lo, exec_lo, s7
	s_delay_alu instid0(VALU_DEP_2) | instskip(NEXT) | instid1(VALU_DEP_2)
	v_lshrrev_b64 v[118:119], 21, v[118:119]
	v_cmp_gt_i32_e32 vcc_lo, 32, v30
	v_min_i32_e32 v40, 31, v30
	v_cmp_eq_u32_e64 s7, 0, v30
	s_delay_alu instid0(VALU_DEP_2) | instskip(SKIP_1) | instid1(VALU_DEP_2)
	v_dual_cndmask_b32 v119, 0, v119 :: v_dual_lshlrev_b32 v40, 2, v40
	v_cndmask_b32_e32 v118, 3, v118, vcc_lo
	v_and_b32_e32 v40, 0xfc, v40
	s_delay_alu instid0(VALU_DEP_2) | instskip(NEXT) | instid1(VALU_DEP_2)
	v_cmp_eq_u64_e32 vcc_lo, 0, v[118:119]
	v_and_or_b32 v30, v118, 3, v40
	s_and_b32 s7, s7, vcc_lo
	s_delay_alu instid0(VALU_DEP_1) | instid1(SALU_CYCLE_1)
	v_cndmask_b32_e64 v30, v30, 0, s7
	s_delay_alu instid0(VALU_DEP_1)
	v_or_b32_e32 v40, v30, v3
.LBB4_615:                              ;   in Loop: Header=BB4_489 Depth=2
	s_or_b32 exec_lo, exec_lo, s21
                                        ; implicit-def: $vgpr3
.LBB4_616:                              ;   in Loop: Header=BB4_489 Depth=2
	s_and_not1_saveexec_b32 s7, s20
; %bb.617:                              ;   in Loop: Header=BB4_489 Depth=2
	v_or_b32_e32 v40, 0x7b, v3
; %bb.618:                              ;   in Loop: Header=BB4_489 Depth=2
	s_or_b32 exec_lo, exec_lo, s7
                                        ; implicit-def: $vgpr30
                                        ; implicit-def: $vgpr118_vgpr119
                                        ; implicit-def: $vgpr3
.LBB4_619:                              ;   in Loop: Header=BB4_489 Depth=2
	s_and_not1_saveexec_b32 s7, s19
	s_cbranch_execz .LBB4_625
; %bb.620:                              ;   in Loop: Header=BB4_489 Depth=2
	s_mov_b32 s19, exec_lo
                                        ; implicit-def: $vgpr40
	v_cmpx_ne_u64_e32 0, v[118:119]
	s_xor_b32 s19, exec_lo, s19
; %bb.621:                              ;   in Loop: Header=BB4_489 Depth=2
	v_or_b32_e32 v40, 0x7f, v3
                                        ; implicit-def: $vgpr30
; %bb.622:                              ;   in Loop: Header=BB4_489 Depth=2
	s_and_not1_saveexec_b32 s19, s19
; %bb.623:                              ;   in Loop: Header=BB4_489 Depth=2
	v_cmp_lt_i32_e32 vcc_lo, -1, v30
	v_cndmask_b32_e32 v40, 0xfc, v58, vcc_lo
; %bb.624:                              ;   in Loop: Header=BB4_489 Depth=2
	s_or_b32 exec_lo, exec_lo, s19
.LBB4_625:                              ;   in Loop: Header=BB4_489 Depth=2
	s_delay_alu instid0(SALU_CYCLE_1)
	s_or_b32 exec_lo, exec_lo, s7
	v_dual_mov_b32 v3, 0 :: v_dual_mov_b32 v118, 0
	s_mov_b32 s7, exec_lo
	v_cmpx_lt_u32_e32 0xffffff, v2
	s_cbranch_execz .LBB4_635
; %bb.626:                              ;   in Loop: Header=BB4_489 Depth=2
	v_lshrrev_b32_e32 v30, 24, v2
	v_bfrev_b32_e32 v118, 1
	s_mov_b32 s19, exec_lo
	s_delay_alu instid0(VALU_DEP_2)
	v_cmpx_ne_u32_e32 0x80, v30
	s_cbranch_execz .LBB4_634
; %bb.627:                              ;   in Loop: Header=BB4_489 Depth=2
	v_and_b32_e32 v118, 0x7c000000, v2
	v_bfe_u32 v119, v2, 24, 2
	s_delay_alu instid0(VALU_DEP_2) | instskip(SKIP_1) | instid1(SALU_CYCLE_1)
	v_cmp_ne_u32_e32 vcc_lo, 0x7c000000, v118
                                        ; implicit-def: $vgpr118
	s_and_saveexec_b32 s20, vcc_lo
	s_xor_b32 s20, exec_lo, s20
	s_cbranch_execz .LBB4_631
; %bb.628:                              ;   in Loop: Header=BB4_489 Depth=2
	v_bfe_u32 v118, v2, 26, 5
	s_mov_b32 s21, exec_lo
	s_delay_alu instid0(VALU_DEP_1)
	v_cmpx_eq_u32_e32 0, v118
; %bb.629:                              ;   in Loop: Header=BB4_489 Depth=2
	v_clz_i32_u32_e32 v118, v119
	s_delay_alu instid0(VALU_DEP_1) | instskip(NEXT) | instid1(VALU_DEP_1)
	v_min_u32_e32 v118, 32, v118
	v_subrev_nc_u32_e32 v119, 29, v118
	v_sub_nc_u32_e32 v118, 30, v118
	s_delay_alu instid0(VALU_DEP_2) | instskip(NEXT) | instid1(VALU_DEP_1)
	v_lshlrev_b64_e32 v[62:63], v119, v[30:31]
	v_and_b32_e32 v119, 3, v62
; %bb.630:                              ;   in Loop: Header=BB4_489 Depth=2
	s_or_b32 exec_lo, exec_lo, s21
	v_and_b32_e32 v2, 0x80000000, v2
	s_delay_alu instid0(VALU_DEP_1) | instskip(NEXT) | instid1(VALU_DEP_1)
	v_lshl_add_u32 v2, v118, 23, v2
	v_lshl_or_b32 v2, v119, 21, v2
                                        ; implicit-def: $vgpr119
	s_delay_alu instid0(VALU_DEP_1)
	v_add_nc_u32_e32 v118, 0x38000000, v2
.LBB4_631:                              ;   in Loop: Header=BB4_489 Depth=2
	s_and_not1_saveexec_b32 s20, s20
; %bb.632:                              ;   in Loop: Header=BB4_489 Depth=2
	v_cmp_lt_i32_e32 vcc_lo, -1, v2
	v_cndmask_b32_e32 v2, 0xff800000, v21, vcc_lo
	v_cmp_eq_u32_e32 vcc_lo, 0, v119
	s_delay_alu instid0(VALU_DEP_2)
	v_cndmask_b32_e32 v118, 0x7f800001, v2, vcc_lo
; %bb.633:                              ;   in Loop: Header=BB4_489 Depth=2
	s_or_b32 exec_lo, exec_lo, s20
.LBB4_634:                              ;   in Loop: Header=BB4_489 Depth=2
	s_delay_alu instid0(SALU_CYCLE_1)
	s_or_b32 exec_lo, exec_lo, s19
.LBB4_635:                              ;   in Loop: Header=BB4_489 Depth=2
	s_delay_alu instid0(SALU_CYCLE_1) | instskip(NEXT) | instid1(SALU_CYCLE_1)
	s_or_b32 exec_lo, exec_lo, s7
	s_mov_b32 s7, exec_lo
	v_cmpx_lt_u32_e32 0xffffff, v54
	s_cbranch_execz .LBB4_645
; %bb.636:                              ;   in Loop: Header=BB4_489 Depth=2
	v_lshrrev_b32_e32 v2, 24, v54
	v_bfrev_b32_e32 v3, 1
	s_mov_b32 s19, exec_lo
	s_delay_alu instid0(VALU_DEP_2)
	v_cmpx_ne_u32_e32 0x80, v2
	s_cbranch_execz .LBB4_644
; %bb.637:                              ;   in Loop: Header=BB4_489 Depth=2
	v_and_b32_e32 v3, 0x7c000000, v54
	v_bfe_u32 v30, v54, 24, 2
	s_delay_alu instid0(VALU_DEP_2) | instskip(SKIP_1) | instid1(SALU_CYCLE_1)
	v_cmp_ne_u32_e32 vcc_lo, 0x7c000000, v3
                                        ; implicit-def: $vgpr3
	s_and_saveexec_b32 s20, vcc_lo
	s_xor_b32 s20, exec_lo, s20
	s_cbranch_execz .LBB4_641
; %bb.638:                              ;   in Loop: Header=BB4_489 Depth=2
	v_bfe_u32 v3, v54, 26, 5
	s_mov_b32 s21, exec_lo
	s_delay_alu instid0(VALU_DEP_1)
	v_cmpx_eq_u32_e32 0, v3
; %bb.639:                              ;   in Loop: Header=BB4_489 Depth=2
	v_clz_i32_u32_e32 v3, v30
	s_delay_alu instid0(VALU_DEP_1) | instskip(NEXT) | instid1(VALU_DEP_1)
	v_min_u32_e32 v30, 32, v3
	v_subrev_nc_u32_e32 v3, 29, v30
	s_delay_alu instid0(VALU_DEP_1) | instskip(SKIP_1) | instid1(VALU_DEP_2)
	v_lshlrev_b64_e32 v[2:3], v3, v[2:3]
	v_sub_nc_u32_e32 v3, 30, v30
	v_and_b32_e32 v30, 3, v2
; %bb.640:                              ;   in Loop: Header=BB4_489 Depth=2
	s_or_b32 exec_lo, exec_lo, s21
	v_and_b32_e32 v2, 0x80000000, v54
	s_delay_alu instid0(VALU_DEP_1) | instskip(NEXT) | instid1(VALU_DEP_1)
	v_lshl_add_u32 v2, v3, 23, v2
	v_lshl_or_b32 v2, v30, 21, v2
                                        ; implicit-def: $vgpr30
	s_delay_alu instid0(VALU_DEP_1)
	v_add_nc_u32_e32 v3, 0x38000000, v2
.LBB4_641:                              ;   in Loop: Header=BB4_489 Depth=2
	s_and_not1_saveexec_b32 s20, s20
; %bb.642:                              ;   in Loop: Header=BB4_489 Depth=2
	v_cmp_lt_i32_e32 vcc_lo, -1, v54
	v_cndmask_b32_e32 v2, 0xff800000, v21, vcc_lo
	v_cmp_eq_u32_e32 vcc_lo, 0, v30
	s_delay_alu instid0(VALU_DEP_2)
	v_cndmask_b32_e32 v3, 0x7f800001, v2, vcc_lo
; %bb.643:                              ;   in Loop: Header=BB4_489 Depth=2
	s_or_b32 exec_lo, exec_lo, s20
.LBB4_644:                              ;   in Loop: Header=BB4_489 Depth=2
	s_delay_alu instid0(SALU_CYCLE_1)
	s_or_b32 exec_lo, exec_lo, s19
.LBB4_645:                              ;   in Loop: Header=BB4_489 Depth=2
	s_delay_alu instid0(SALU_CYCLE_1) | instskip(NEXT) | instid1(VALU_DEP_1)
	s_or_b32 exec_lo, exec_lo, s7
	v_dual_mul_f32 v2, v118, v3 :: v_dual_mov_b32 v119, v55
                                        ; implicit-def: $vgpr41
	s_mov_b32 s7, exec_lo
	s_delay_alu instid0(VALU_DEP_1) | instskip(SKIP_2) | instid1(VALU_DEP_3)
	v_and_b32_e32 v118, 0x7f800000, v2
	v_and_b32_e32 v54, 0x7fffff, v2
	v_lshrrev_b32_e32 v3, 24, v2
	v_cmpx_ne_u64_e32 0x7f800000, v[118:119]
	s_xor_b32 s19, exec_lo, s7
	s_cbranch_execz .LBB4_659
; %bb.646:                              ;   in Loop: Header=BB4_489 Depth=2
	v_and_b32_e32 v118, 0x7fffffff, v2
	v_mov_b32_e32 v119, v55
	v_and_b32_e32 v30, 0x80, v3
                                        ; implicit-def: $vgpr41
	s_mov_b32 s7, exec_lo
	s_delay_alu instid0(VALU_DEP_2)
	v_cmpx_gt_u64_e32 0x47600001, v[118:119]
	s_xor_b32 s20, exec_lo, s7
	s_cbranch_execz .LBB4_656
; %bb.647:                              ;   in Loop: Header=BB4_489 Depth=2
	v_mov_b32_e32 v41, 0
	s_mov_b32 s21, exec_lo
	v_cmpx_ne_u32_e32 0, v2
	s_cbranch_execz .LBB4_655
; %bb.648:                              ;   in Loop: Header=BB4_489 Depth=2
	v_bfe_u32 v41, v2, 23, 8
	v_or_b32_e32 v118, 0x800000, v54
	s_delay_alu instid0(VALU_DEP_2) | instskip(SKIP_1) | instid1(VALU_DEP_2)
	v_sub_nc_u32_e32 v2, 0x71, v41
	v_cmp_gt_u32_e32 vcc_lo, 0x72, v41
	v_cndmask_b32_e32 v2, 0, v2, vcc_lo
	v_cmp_eq_u32_e32 vcc_lo, 0, v41
	s_delay_alu instid0(VALU_DEP_2) | instskip(NEXT) | instid1(VALU_DEP_1)
	v_cndmask_b32_e64 v47, v2, 0x70, vcc_lo
	v_dual_cndmask_b32 v54, v118, v54, vcc_lo :: v_dual_add_nc_u32 v2, 21, v47
	v_add_nc_u32_e32 v119, 20, v47
	s_delay_alu instid0(VALU_DEP_2) | instskip(NEXT) | instid1(VALU_DEP_2)
	v_lshlrev_b64_e64 v[2:3], v2, -1
	v_lshlrev_b64_e64 v[118:119], v119, 1
	s_delay_alu instid0(VALU_DEP_2) | instskip(NEXT) | instid1(VALU_DEP_3)
	v_bfi_b32 v63, v3, 0, 0
	v_bfi_b32 v62, v2, 0, v54
	v_lshrrev_b64 v[2:3], v47, v[54:55]
	s_delay_alu instid0(VALU_DEP_2) | instskip(NEXT) | instid1(VALU_DEP_2)
	v_cmp_eq_u64_e64 s7, v[62:63], v[118:119]
	v_mov_b64_e32 v[118:119], v[2:3]
	s_and_saveexec_b32 s22, s7
; %bb.649:                              ;   in Loop: Header=BB4_489 Depth=2
	v_bfe_u32 v54, v2, 21, 1
	s_delay_alu instid0(VALU_DEP_1) | instskip(NEXT) | instid1(VALU_DEP_1)
	v_add_nc_u64_e32 v[118:119], v[2:3], v[54:55]
	v_add_nc_u64_e32 v[118:119], -1, v[118:119]
; %bb.650:                              ;   in Loop: Header=BB4_489 Depth=2
	s_or_b32 exec_lo, exec_lo, s22
	v_add_nc_u32_e32 v3, 0xffffff81, v41
	v_lshrrev_b32_e32 v54, 23, v2
	s_mov_b32 s7, exec_lo
	s_delay_alu instid0(VALU_DEP_2) | instskip(NEXT) | instid1(VALU_DEP_1)
	v_cndmask_b32_e64 v3, v3, 0xffffff82, vcc_lo
	v_add3_u32 v119, v47, v3, v54
	v_and_b32_e32 v3, 0x1fffff, v118
                                        ; implicit-def: $vgpr118
	s_delay_alu instid0(VALU_DEP_1) | instskip(NEXT) | instid1(VALU_DEP_1)
	v_dual_add_nc_u32 v41, 14, v119 :: v_dual_add_nc_u32 v54, v3, v2
                                        ; implicit-def: $vgpr2_vgpr3
	v_cmpx_ne_u32_e32 0, v41
	s_xor_b32 s7, exec_lo, s7
; %bb.651:                              ;   in Loop: Header=BB4_489 Depth=2
	s_delay_alu instid0(VALU_DEP_2) | instskip(SKIP_1) | instid1(VALU_DEP_1)
	v_cmp_lt_u64_e32 vcc_lo, 0xffffff, v[54:55]
	v_add_nc_u32_e32 v2, 15, v119
	v_cndmask_b32_e32 v118, v41, v2, vcc_lo
	v_cndmask_b32_e64 v2, 0, 1, vcc_lo
	s_delay_alu instid0(VALU_DEP_1)
	v_lshrrev_b64 v[2:3], v2, v[54:55]
; %bb.652:                              ;   in Loop: Header=BB4_489 Depth=2
	s_and_not1_saveexec_b32 s7, s7
; %bb.653:                              ;   in Loop: Header=BB4_489 Depth=2
	v_mov_b64_e32 v[2:3], v[54:55]
	v_bfe_u32 v118, v54, 23, 1
; %bb.654:                              ;   in Loop: Header=BB4_489 Depth=2
	s_or_b32 exec_lo, exec_lo, s7
	s_delay_alu instid0(VALU_DEP_2) | instskip(NEXT) | instid1(VALU_DEP_2)
	v_lshrrev_b64 v[2:3], 21, v[2:3]
	v_cmp_gt_i32_e32 vcc_lo, 32, v118
	v_min_i32_e32 v54, 31, v118
	v_cmp_eq_u32_e64 s7, 0, v118
	s_delay_alu instid0(VALU_DEP_2) | instskip(SKIP_1) | instid1(VALU_DEP_2)
	v_dual_cndmask_b32 v3, 0, v3 :: v_dual_lshlrev_b32 v54, 2, v54
	v_cndmask_b32_e32 v2, 3, v2, vcc_lo
	v_and_b32_e32 v54, 0xfc, v54
	s_delay_alu instid0(VALU_DEP_2) | instskip(NEXT) | instid1(VALU_DEP_2)
	v_cmp_eq_u64_e32 vcc_lo, 0, v[2:3]
	v_and_or_b32 v2, v2, 3, v54
	s_and_b32 s7, s7, vcc_lo
	s_delay_alu instid0(VALU_DEP_1) | instid1(SALU_CYCLE_1)
	v_cndmask_b32_e64 v2, v2, 0, s7
	s_delay_alu instid0(VALU_DEP_1)
	v_or_b32_e32 v41, v2, v30
.LBB4_655:                              ;   in Loop: Header=BB4_489 Depth=2
	s_or_b32 exec_lo, exec_lo, s21
                                        ; implicit-def: $vgpr30
.LBB4_656:                              ;   in Loop: Header=BB4_489 Depth=2
	s_and_not1_saveexec_b32 s7, s20
; %bb.657:                              ;   in Loop: Header=BB4_489 Depth=2
	v_or_b32_e32 v41, 0x7b, v30
; %bb.658:                              ;   in Loop: Header=BB4_489 Depth=2
	s_or_b32 exec_lo, exec_lo, s7
                                        ; implicit-def: $vgpr2
                                        ; implicit-def: $vgpr3
.LBB4_659:                              ;   in Loop: Header=BB4_489 Depth=2
	s_and_not1_saveexec_b32 s7, s19
	s_cbranch_execz .LBB4_665
; %bb.660:                              ;   in Loop: Header=BB4_489 Depth=2
	s_mov_b32 s19, exec_lo
                                        ; implicit-def: $vgpr41
	v_cmpx_ne_u64_e32 0, v[54:55]
	s_xor_b32 s19, exec_lo, s19
; %bb.661:                              ;   in Loop: Header=BB4_489 Depth=2
	v_or_b32_e32 v41, 0x7f, v3
                                        ; implicit-def: $vgpr2
; %bb.662:                              ;   in Loop: Header=BB4_489 Depth=2
	s_and_not1_saveexec_b32 s19, s19
; %bb.663:                              ;   in Loop: Header=BB4_489 Depth=2
	v_cmp_lt_i32_e32 vcc_lo, -1, v2
	v_cndmask_b32_e32 v41, 0xfc, v58, vcc_lo
; %bb.664:                              ;   in Loop: Header=BB4_489 Depth=2
	s_or_b32 exec_lo, exec_lo, s19
.LBB4_665:                              ;   in Loop: Header=BB4_489 Depth=2
	s_delay_alu instid0(SALU_CYCLE_1) | instskip(SKIP_2) | instid1(VALU_DEP_2)
	s_or_b32 exec_lo, exec_lo, s7
	v_and_b32_e32 v3, 0xff, v4
	v_mov_b32_e32 v2, 0
	v_cmp_ne_u16_e32 vcc_lo, 0, v3
	v_mov_b32_e32 v3, 0
	s_and_saveexec_b32 s7, vcc_lo
	s_cbranch_execz .LBB4_675
; %bb.666:                              ;   in Loop: Header=BB4_489 Depth=2
	v_bfe_i32 v54, v4, 0, 8
	v_bfrev_b32_e32 v3, 1
	s_mov_b32 s19, exec_lo
	s_delay_alu instid0(VALU_DEP_2)
	v_cmpx_ne_u16_e32 0xff80, v54
	s_cbranch_execz .LBB4_674
; %bb.667:                              ;   in Loop: Header=BB4_489 Depth=2
	v_and_b32_e32 v3, 0x7c, v4
	v_and_b32_e32 v30, 3, v4
	s_delay_alu instid0(VALU_DEP_2) | instskip(SKIP_1) | instid1(SALU_CYCLE_1)
	v_cmp_ne_u32_e32 vcc_lo, 0x7c, v3
                                        ; implicit-def: $vgpr3
	s_and_saveexec_b32 s20, vcc_lo
	s_xor_b32 s20, exec_lo, s20
	s_cbranch_execz .LBB4_671
; %bb.668:                              ;   in Loop: Header=BB4_489 Depth=2
	v_bfe_u32 v3, v4, 2, 5
	s_mov_b32 s21, exec_lo
	s_delay_alu instid0(VALU_DEP_1)
	v_cmpx_eq_u32_e32 0, v3
; %bb.669:                              ;   in Loop: Header=BB4_489 Depth=2
	v_clz_i32_u32_e32 v3, v30
	s_delay_alu instid0(VALU_DEP_1) | instskip(NEXT) | instid1(VALU_DEP_1)
	v_min_u32_e32 v3, 32, v3
	v_subrev_nc_u32_e32 v30, 29, v3
	s_delay_alu instid0(VALU_DEP_1) | instskip(NEXT) | instid1(VALU_DEP_1)
	v_lshlrev_b64_e32 v[118:119], v30, v[4:5]
	v_dual_sub_nc_u32 v3, 30, v3 :: v_dual_bitop2_b32 v30, 3, v118 bitop3:0x40
; %bb.670:                              ;   in Loop: Header=BB4_489 Depth=2
	s_or_b32 exec_lo, exec_lo, s21
	v_lshlrev_b32_e32 v5, 24, v4
                                        ; implicit-def: $vgpr54
	s_delay_alu instid0(VALU_DEP_1) | instskip(NEXT) | instid1(VALU_DEP_1)
	v_and_b32_e32 v5, 0x80000000, v5
	v_lshl_add_u32 v3, v3, 23, v5
	s_delay_alu instid0(VALU_DEP_1) | instskip(NEXT) | instid1(VALU_DEP_1)
	v_lshl_or_b32 v3, v30, 21, v3
                                        ; implicit-def: $vgpr30
	v_add_nc_u32_e32 v3, 0x38000000, v3
.LBB4_671:                              ;   in Loop: Header=BB4_489 Depth=2
	s_and_not1_saveexec_b32 s20, s20
; %bb.672:                              ;   in Loop: Header=BB4_489 Depth=2
	v_cmp_lt_i16_e32 vcc_lo, -1, v54
	v_cndmask_b32_e32 v3, 0xff800000, v21, vcc_lo
	v_cmp_eq_u32_e32 vcc_lo, 0, v30
	s_delay_alu instid0(VALU_DEP_2)
	v_cndmask_b32_e32 v3, 0x7f800001, v3, vcc_lo
; %bb.673:                              ;   in Loop: Header=BB4_489 Depth=2
	s_or_b32 exec_lo, exec_lo, s20
.LBB4_674:                              ;   in Loop: Header=BB4_489 Depth=2
	s_delay_alu instid0(SALU_CYCLE_1)
	s_or_b32 exec_lo, exec_lo, s19
.LBB4_675:                              ;   in Loop: Header=BB4_489 Depth=2
	s_delay_alu instid0(SALU_CYCLE_1) | instskip(SKIP_2) | instid1(VALU_DEP_1)
	s_or_b32 exec_lo, exec_lo, s7
	v_alignbit_b32 v54, v44, v45, v46
	s_mov_b32 s7, exec_lo
	v_and_b32_e32 v5, 0xff, v54
	s_delay_alu instid0(VALU_DEP_1)
	v_cmpx_ne_u16_e32 0, v5
	s_cbranch_execz .LBB4_685
; %bb.676:                              ;   in Loop: Header=BB4_489 Depth=2
	v_bfe_i32 v30, v54, 0, 8
	v_bfrev_b32_e32 v2, 1
	s_mov_b32 s19, exec_lo
	s_delay_alu instid0(VALU_DEP_2)
	v_cmpx_ne_u16_e32 0xff80, v30
	s_cbranch_execz .LBB4_684
; %bb.677:                              ;   in Loop: Header=BB4_489 Depth=2
	v_and_b32_e32 v2, 0x7c, v54
	v_and_b32_e32 v5, 3, v54
	s_delay_alu instid0(VALU_DEP_2) | instskip(SKIP_1) | instid1(SALU_CYCLE_1)
	v_cmp_ne_u32_e32 vcc_lo, 0x7c, v2
                                        ; implicit-def: $vgpr2
	s_and_saveexec_b32 s20, vcc_lo
	s_xor_b32 s20, exec_lo, s20
	s_cbranch_execz .LBB4_681
; %bb.678:                              ;   in Loop: Header=BB4_489 Depth=2
	v_bfe_u32 v2, v54, 2, 5
	s_mov_b32 s21, exec_lo
	s_delay_alu instid0(VALU_DEP_1)
	v_cmpx_eq_u32_e32 0, v2
; %bb.679:                              ;   in Loop: Header=BB4_489 Depth=2
	v_clz_i32_u32_e32 v2, v5
	s_delay_alu instid0(VALU_DEP_1) | instskip(NEXT) | instid1(VALU_DEP_1)
	v_min_u32_e32 v2, 32, v2
	v_subrev_nc_u32_e32 v5, 29, v2
	v_sub_nc_u32_e32 v2, 30, v2
	s_delay_alu instid0(VALU_DEP_2) | instskip(NEXT) | instid1(VALU_DEP_1)
	v_lshlrev_b64_e32 v[118:119], v5, v[54:55]
	v_and_b32_e32 v5, 3, v118
; %bb.680:                              ;   in Loop: Header=BB4_489 Depth=2
	s_or_b32 exec_lo, exec_lo, s21
	v_lshlrev_b32_e32 v30, 24, v54
	s_delay_alu instid0(VALU_DEP_1) | instskip(NEXT) | instid1(VALU_DEP_1)
	v_and_b32_e32 v30, 0x80000000, v30
	v_lshl_add_u32 v2, v2, 23, v30
                                        ; implicit-def: $vgpr30
	s_delay_alu instid0(VALU_DEP_1) | instskip(NEXT) | instid1(VALU_DEP_1)
	v_lshl_or_b32 v2, v5, 21, v2
                                        ; implicit-def: $vgpr5
	v_add_nc_u32_e32 v2, 0x38000000, v2
.LBB4_681:                              ;   in Loop: Header=BB4_489 Depth=2
	s_and_not1_saveexec_b32 s20, s20
; %bb.682:                              ;   in Loop: Header=BB4_489 Depth=2
	v_cmp_lt_i16_e32 vcc_lo, -1, v30
	v_cndmask_b32_e32 v2, 0xff800000, v21, vcc_lo
	v_cmp_eq_u32_e32 vcc_lo, 0, v5
	s_delay_alu instid0(VALU_DEP_2)
	v_cndmask_b32_e32 v2, 0x7f800001, v2, vcc_lo
; %bb.683:                              ;   in Loop: Header=BB4_489 Depth=2
	s_or_b32 exec_lo, exec_lo, s20
.LBB4_684:                              ;   in Loop: Header=BB4_489 Depth=2
	s_delay_alu instid0(SALU_CYCLE_1)
	s_or_b32 exec_lo, exec_lo, s19
.LBB4_685:                              ;   in Loop: Header=BB4_489 Depth=2
	s_delay_alu instid0(SALU_CYCLE_1) | instskip(NEXT) | instid1(VALU_DEP_1)
	s_or_b32 exec_lo, exec_lo, s7
	v_mul_f32_e32 v30, v3, v2
	v_dual_mov_b32 v119, v55 :: v_dual_mov_b32 v3, v55
                                        ; implicit-def: $vgpr44
	s_mov_b32 s7, exec_lo
	s_delay_alu instid0(VALU_DEP_2) | instskip(SKIP_2) | instid1(VALU_DEP_3)
	v_and_b32_e32 v118, 0x7f800000, v30
	v_and_b32_e32 v2, 0x7fffff, v30
	v_lshrrev_b32_e32 v5, 24, v30
	v_cmpx_ne_u64_e32 0x7f800000, v[118:119]
	s_xor_b32 s19, exec_lo, s7
	s_cbranch_execz .LBB4_699
; %bb.686:                              ;   in Loop: Header=BB4_489 Depth=2
	v_and_b32_e32 v118, 0x7fffffff, v30
	v_mov_b32_e32 v119, v55
	v_and_b32_e32 v5, 0x80, v5
                                        ; implicit-def: $vgpr44
	s_mov_b32 s7, exec_lo
	s_delay_alu instid0(VALU_DEP_2)
	v_cmpx_gt_u64_e32 0x47600001, v[118:119]
	s_xor_b32 s20, exec_lo, s7
	s_cbranch_execz .LBB4_696
; %bb.687:                              ;   in Loop: Header=BB4_489 Depth=2
	v_mov_b32_e32 v44, 0
	s_mov_b32 s21, exec_lo
	v_cmpx_ne_u32_e32 0, v30
	s_cbranch_execz .LBB4_695
; %bb.688:                              ;   in Loop: Header=BB4_489 Depth=2
	v_bfe_u32 v30, v30, 23, 8
	v_or_b32_e32 v45, 0x800000, v2
	s_delay_alu instid0(VALU_DEP_2) | instskip(SKIP_1) | instid1(VALU_DEP_2)
	v_sub_nc_u32_e32 v118, 0x71, v30
	v_cmp_gt_u32_e32 vcc_lo, 0x72, v30
	v_cndmask_b32_e32 v118, 0, v118, vcc_lo
	v_cmp_eq_u32_e32 vcc_lo, 0, v30
	s_delay_alu instid0(VALU_DEP_2) | instskip(NEXT) | instid1(VALU_DEP_1)
	v_cndmask_b32_e64 v44, v118, 0x70, vcc_lo
	v_dual_cndmask_b32 v2, v45, v2, vcc_lo :: v_dual_add_nc_u32 v118, 21, v44
	v_add_nc_u32_e32 v46, 20, v44
	s_delay_alu instid0(VALU_DEP_2) | instskip(NEXT) | instid1(VALU_DEP_2)
	v_lshlrev_b64_e64 v[118:119], v118, -1
	v_lshlrev_b64_e64 v[46:47], v46, 1
	s_delay_alu instid0(VALU_DEP_2) | instskip(SKIP_1) | instid1(VALU_DEP_4)
	v_bfi_b32 v118, v118, 0, v2
	v_lshrrev_b64 v[2:3], v44, v[2:3]
	v_bfi_b32 v119, v119, 0, 0
	s_delay_alu instid0(VALU_DEP_1) | instskip(NEXT) | instid1(VALU_DEP_3)
	v_cmp_eq_u64_e64 s7, v[118:119], v[46:47]
	v_mov_b64_e32 v[118:119], v[2:3]
	s_and_saveexec_b32 s22, s7
; %bb.689:                              ;   in Loop: Header=BB4_489 Depth=2
	v_bfe_u32 v118, v2, 21, 1
	v_mov_b32_e32 v119, v55
	s_delay_alu instid0(VALU_DEP_1) | instskip(NEXT) | instid1(VALU_DEP_1)
	v_add_nc_u64_e32 v[118:119], v[2:3], v[118:119]
	v_add_nc_u64_e32 v[118:119], -1, v[118:119]
; %bb.690:                              ;   in Loop: Header=BB4_489 Depth=2
	s_or_b32 exec_lo, exec_lo, s22
	v_add_nc_u32_e32 v3, 0xffffff81, v30
	v_lshrrev_b32_e32 v30, 23, v2
	s_mov_b32 s7, exec_lo
	s_delay_alu instid0(VALU_DEP_2) | instskip(NEXT) | instid1(VALU_DEP_1)
	v_cndmask_b32_e64 v3, v3, 0xffffff82, vcc_lo
	v_add3_u32 v119, v44, v3, v30
	v_and_b32_e32 v3, 0x1fffff, v118
                                        ; implicit-def: $vgpr30
	s_delay_alu instid0(VALU_DEP_1) | instskip(SKIP_1) | instid1(VALU_DEP_2)
	v_dual_add_nc_u32 v118, 14, v119 :: v_dual_add_nc_u32 v2, v3, v2
	v_mov_b32_e32 v3, v55
	v_cmpx_ne_u32_e32 0, v118
	s_xor_b32 s7, exec_lo, s7
; %bb.691:                              ;   in Loop: Header=BB4_489 Depth=2
	s_delay_alu instid0(VALU_DEP_2) | instskip(SKIP_1) | instid1(VALU_DEP_1)
	v_cmp_lt_u64_e32 vcc_lo, 0xffffff, v[2:3]
	v_add_nc_u32_e32 v30, 15, v119
	v_cndmask_b32_e32 v30, v118, v30, vcc_lo
	v_cndmask_b32_e64 v118, 0, 1, vcc_lo
	s_delay_alu instid0(VALU_DEP_1)
	v_lshrrev_b64 v[2:3], v118, v[2:3]
; %bb.692:                              ;   in Loop: Header=BB4_489 Depth=2
	s_and_not1_saveexec_b32 s7, s7
; %bb.693:                              ;   in Loop: Header=BB4_489 Depth=2
	s_delay_alu instid0(VALU_DEP_1)
	v_bfe_u32 v30, v2, 23, 1
; %bb.694:                              ;   in Loop: Header=BB4_489 Depth=2
	s_or_b32 exec_lo, exec_lo, s7
	s_delay_alu instid0(VALU_DEP_2) | instskip(NEXT) | instid1(VALU_DEP_2)
	v_lshrrev_b64 v[2:3], 21, v[2:3]
	v_cmp_gt_i32_e32 vcc_lo, 32, v30
	v_min_i32_e32 v118, 31, v30
	v_cmp_eq_u32_e64 s7, 0, v30
	s_delay_alu instid0(VALU_DEP_2) | instskip(SKIP_1) | instid1(VALU_DEP_2)
	v_dual_cndmask_b32 v3, 0, v3 :: v_dual_lshlrev_b32 v118, 2, v118
	v_cndmask_b32_e32 v2, 3, v2, vcc_lo
	v_and_b32_e32 v118, 0xfc, v118
	s_delay_alu instid0(VALU_DEP_2) | instskip(NEXT) | instid1(VALU_DEP_2)
	v_cmp_eq_u64_e32 vcc_lo, 0, v[2:3]
	v_and_or_b32 v2, v2, 3, v118
	s_and_b32 s7, s7, vcc_lo
	s_delay_alu instid0(VALU_DEP_1) | instid1(SALU_CYCLE_1)
	v_cndmask_b32_e64 v2, v2, 0, s7
	s_delay_alu instid0(VALU_DEP_1)
	v_or_b32_e32 v44, v2, v5
.LBB4_695:                              ;   in Loop: Header=BB4_489 Depth=2
	s_or_b32 exec_lo, exec_lo, s21
                                        ; implicit-def: $vgpr5
.LBB4_696:                              ;   in Loop: Header=BB4_489 Depth=2
	s_and_not1_saveexec_b32 s7, s20
; %bb.697:                              ;   in Loop: Header=BB4_489 Depth=2
	v_or_b32_e32 v44, 0x7b, v5
; %bb.698:                              ;   in Loop: Header=BB4_489 Depth=2
	s_or_b32 exec_lo, exec_lo, s7
                                        ; implicit-def: $vgpr30
                                        ; implicit-def: $vgpr2_vgpr3
                                        ; implicit-def: $vgpr5
.LBB4_699:                              ;   in Loop: Header=BB4_489 Depth=2
	s_and_not1_saveexec_b32 s7, s19
	s_cbranch_execz .LBB4_705
; %bb.700:                              ;   in Loop: Header=BB4_489 Depth=2
	s_mov_b32 s19, exec_lo
                                        ; implicit-def: $vgpr44
	v_cmpx_ne_u64_e32 0, v[2:3]
	s_xor_b32 s19, exec_lo, s19
; %bb.701:                              ;   in Loop: Header=BB4_489 Depth=2
	v_or_b32_e32 v44, 0x7f, v5
                                        ; implicit-def: $vgpr30
; %bb.702:                              ;   in Loop: Header=BB4_489 Depth=2
	s_and_not1_saveexec_b32 s19, s19
; %bb.703:                              ;   in Loop: Header=BB4_489 Depth=2
	v_cmp_lt_i32_e32 vcc_lo, -1, v30
	v_cndmask_b32_e32 v44, 0xfc, v58, vcc_lo
; %bb.704:                              ;   in Loop: Header=BB4_489 Depth=2
	s_or_b32 exec_lo, exec_lo, s19
.LBB4_705:                              ;   in Loop: Header=BB4_489 Depth=2
	s_delay_alu instid0(SALU_CYCLE_1) | instskip(SKIP_3) | instid1(VALU_DEP_2)
	s_or_b32 exec_lo, exec_lo, s7
	v_lshrrev_b16 v2, 8, v4
	v_dual_mov_b32 v5, 0 :: v_dual_mov_b32 v30, 0
	s_mov_b32 s7, exec_lo
	v_cmpx_ne_u16_e32 0, v2
	s_cbranch_execz .LBB4_715
; %bb.706:                              ;   in Loop: Header=BB4_489 Depth=2
	v_bfrev_b32_e32 v30, 1
	s_mov_b32 s19, exec_lo
	v_cmpx_ne_u16_e32 0x80, v2
	s_cbranch_execz .LBB4_714
; %bb.707:                              ;   in Loop: Header=BB4_489 Depth=2
	v_and_b32_e32 v118, 0xffff, v2
	s_delay_alu instid0(VALU_DEP_1) | instskip(SKIP_1) | instid1(VALU_DEP_2)
	v_and_b32_e32 v30, 0x7c, v118
	v_and_b32_e32 v3, 3, v118
	v_cmp_ne_u32_e32 vcc_lo, 0x7c, v30
                                        ; implicit-def: $vgpr30
	s_and_saveexec_b32 s20, vcc_lo
	s_delay_alu instid0(SALU_CYCLE_1)
	s_xor_b32 s20, exec_lo, s20
	s_cbranch_execz .LBB4_711
; %bb.708:                              ;   in Loop: Header=BB4_489 Depth=2
	v_bfe_u32 v30, v118, 2, 5
	s_mov_b32 s21, exec_lo
	s_delay_alu instid0(VALU_DEP_1)
	v_cmpx_eq_u32_e32 0, v30
	s_cbranch_execz .LBB4_710
; %bb.709:                              ;   in Loop: Header=BB4_489 Depth=2
	v_clz_i32_u32_e32 v3, v3
	s_delay_alu instid0(VALU_DEP_1) | instskip(SKIP_1) | instid1(VALU_DEP_2)
	v_min_u32_e32 v30, 32, v3
	v_mov_b32_e32 v3, v55
	v_subrev_nc_u32_e32 v118, 29, v30
	v_sub_nc_u32_e32 v30, 30, v30
	s_delay_alu instid0(VALU_DEP_2) | instskip(NEXT) | instid1(VALU_DEP_1)
	v_lshlrev_b64_e32 v[2:3], v118, v[2:3]
	v_and_b32_e32 v3, 3, v2
.LBB4_710:                              ;   in Loop: Header=BB4_489 Depth=2
	s_or_b32 exec_lo, exec_lo, s21
	v_lshlrev_b32_e32 v2, 16, v4
	s_delay_alu instid0(VALU_DEP_1) | instskip(NEXT) | instid1(VALU_DEP_1)
	v_and_b32_e32 v2, 0x80000000, v2
	v_lshl_add_u32 v2, v30, 23, v2
	s_delay_alu instid0(VALU_DEP_1) | instskip(NEXT) | instid1(VALU_DEP_1)
	v_lshl_or_b32 v2, v3, 21, v2
                                        ; implicit-def: $vgpr3
	v_add_nc_u32_e32 v30, 0x38000000, v2
.LBB4_711:                              ;   in Loop: Header=BB4_489 Depth=2
	s_and_not1_saveexec_b32 s20, s20
; %bb.712:                              ;   in Loop: Header=BB4_489 Depth=2
	v_cmp_lt_i16_e32 vcc_lo, -1, v4
	v_cndmask_b32_e32 v2, 0xff800000, v21, vcc_lo
	v_cmp_eq_u32_e32 vcc_lo, 0, v3
	s_delay_alu instid0(VALU_DEP_2)
	v_cndmask_b32_e32 v30, 0x7f800001, v2, vcc_lo
; %bb.713:                              ;   in Loop: Header=BB4_489 Depth=2
	s_or_b32 exec_lo, exec_lo, s20
.LBB4_714:                              ;   in Loop: Header=BB4_489 Depth=2
	s_delay_alu instid0(SALU_CYCLE_1)
	s_or_b32 exec_lo, exec_lo, s19
.LBB4_715:                              ;   in Loop: Header=BB4_489 Depth=2
	s_delay_alu instid0(SALU_CYCLE_1) | instskip(SKIP_2) | instid1(VALU_DEP_1)
	s_or_b32 exec_lo, exec_lo, s7
	v_lshrrev_b16 v2, 8, v54
	s_mov_b32 s7, exec_lo
	v_cmpx_ne_u16_e32 0, v2
	s_cbranch_execz .LBB4_725
; %bb.716:                              ;   in Loop: Header=BB4_489 Depth=2
	v_bfrev_b32_e32 v5, 1
	s_mov_b32 s19, exec_lo
	v_cmpx_ne_u16_e32 0x80, v2
	s_cbranch_execz .LBB4_724
; %bb.717:                              ;   in Loop: Header=BB4_489 Depth=2
	v_and_b32_e32 v118, 0xffff, v2
	s_delay_alu instid0(VALU_DEP_1) | instskip(SKIP_1) | instid1(VALU_DEP_2)
	v_and_b32_e32 v5, 0x7c, v118
	v_and_b32_e32 v3, 3, v118
	v_cmp_ne_u32_e32 vcc_lo, 0x7c, v5
                                        ; implicit-def: $vgpr5
	s_and_saveexec_b32 s20, vcc_lo
	s_delay_alu instid0(SALU_CYCLE_1)
	s_xor_b32 s20, exec_lo, s20
	s_cbranch_execz .LBB4_721
; %bb.718:                              ;   in Loop: Header=BB4_489 Depth=2
	v_bfe_u32 v5, v118, 2, 5
	s_mov_b32 s21, exec_lo
	s_delay_alu instid0(VALU_DEP_1)
	v_cmpx_eq_u32_e32 0, v5
	s_cbranch_execz .LBB4_720
; %bb.719:                              ;   in Loop: Header=BB4_489 Depth=2
	v_clz_i32_u32_e32 v3, v3
	s_delay_alu instid0(VALU_DEP_1) | instskip(SKIP_1) | instid1(VALU_DEP_2)
	v_min_u32_e32 v5, 32, v3
	v_mov_b32_e32 v3, v55
	v_subrev_nc_u32_e32 v118, 29, v5
	v_sub_nc_u32_e32 v5, 30, v5
	s_delay_alu instid0(VALU_DEP_2) | instskip(NEXT) | instid1(VALU_DEP_1)
	v_lshlrev_b64_e32 v[2:3], v118, v[2:3]
	v_and_b32_e32 v3, 3, v2
.LBB4_720:                              ;   in Loop: Header=BB4_489 Depth=2
	s_or_b32 exec_lo, exec_lo, s21
	v_lshlrev_b32_e32 v2, 16, v54
	s_delay_alu instid0(VALU_DEP_1) | instskip(NEXT) | instid1(VALU_DEP_1)
	v_and_b32_e32 v2, 0x80000000, v2
	v_lshl_add_u32 v2, v5, 23, v2
	s_delay_alu instid0(VALU_DEP_1) | instskip(NEXT) | instid1(VALU_DEP_1)
	v_lshl_or_b32 v2, v3, 21, v2
                                        ; implicit-def: $vgpr3
	v_add_nc_u32_e32 v5, 0x38000000, v2
.LBB4_721:                              ;   in Loop: Header=BB4_489 Depth=2
	s_and_not1_saveexec_b32 s20, s20
; %bb.722:                              ;   in Loop: Header=BB4_489 Depth=2
	v_cmp_lt_i16_e32 vcc_lo, -1, v54
	v_cndmask_b32_e32 v2, 0xff800000, v21, vcc_lo
	v_cmp_eq_u32_e32 vcc_lo, 0, v3
	s_delay_alu instid0(VALU_DEP_2)
	v_cndmask_b32_e32 v5, 0x7f800001, v2, vcc_lo
; %bb.723:                              ;   in Loop: Header=BB4_489 Depth=2
	s_or_b32 exec_lo, exec_lo, s20
.LBB4_724:                              ;   in Loop: Header=BB4_489 Depth=2
	s_delay_alu instid0(SALU_CYCLE_1)
	s_or_b32 exec_lo, exec_lo, s19
.LBB4_725:                              ;   in Loop: Header=BB4_489 Depth=2
	s_delay_alu instid0(SALU_CYCLE_1) | instskip(NEXT) | instid1(VALU_DEP_1)
	s_or_b32 exec_lo, exec_lo, s7
	v_dual_mul_f32 v30, v30, v5 :: v_dual_mov_b32 v119, v55
	v_mov_b32_e32 v3, v55
                                        ; implicit-def: $vgpr45
	s_mov_b32 s7, exec_lo
	s_delay_alu instid0(VALU_DEP_2) | instskip(SKIP_2) | instid1(VALU_DEP_3)
	v_and_b32_e32 v118, 0x7f800000, v30
	v_and_b32_e32 v2, 0x7fffff, v30
	v_lshrrev_b32_e32 v5, 24, v30
	v_cmpx_ne_u64_e32 0x7f800000, v[118:119]
	s_xor_b32 s19, exec_lo, s7
	s_cbranch_execz .LBB4_739
; %bb.726:                              ;   in Loop: Header=BB4_489 Depth=2
	v_and_b32_e32 v118, 0x7fffffff, v30
	v_mov_b32_e32 v119, v55
	v_and_b32_e32 v5, 0x80, v5
                                        ; implicit-def: $vgpr45
	s_mov_b32 s7, exec_lo
	s_delay_alu instid0(VALU_DEP_2)
	v_cmpx_gt_u64_e32 0x47600001, v[118:119]
	s_xor_b32 s20, exec_lo, s7
	s_cbranch_execz .LBB4_736
; %bb.727:                              ;   in Loop: Header=BB4_489 Depth=2
	v_mov_b32_e32 v45, 0
	s_mov_b32 s21, exec_lo
	v_cmpx_ne_u32_e32 0, v30
	s_cbranch_execz .LBB4_735
; %bb.728:                              ;   in Loop: Header=BB4_489 Depth=2
	v_bfe_u32 v30, v30, 23, 8
	v_or_b32_e32 v46, 0x800000, v2
	s_delay_alu instid0(VALU_DEP_2) | instskip(SKIP_1) | instid1(VALU_DEP_2)
	v_sub_nc_u32_e32 v118, 0x71, v30
	v_cmp_gt_u32_e32 vcc_lo, 0x72, v30
	v_cndmask_b32_e32 v118, 0, v118, vcc_lo
	v_cmp_eq_u32_e32 vcc_lo, 0, v30
	s_delay_alu instid0(VALU_DEP_2) | instskip(NEXT) | instid1(VALU_DEP_1)
	v_cndmask_b32_e64 v45, v118, 0x70, vcc_lo
	v_dual_cndmask_b32 v2, v46, v2, vcc_lo :: v_dual_add_nc_u32 v118, 21, v45
	v_add_nc_u32_e32 v47, 20, v45
	s_delay_alu instid0(VALU_DEP_2) | instskip(NEXT) | instid1(VALU_DEP_2)
	v_lshlrev_b64_e64 v[118:119], v118, -1
	v_lshlrev_b64_e64 v[46:47], v47, 1
	s_delay_alu instid0(VALU_DEP_2) | instskip(SKIP_1) | instid1(VALU_DEP_4)
	v_bfi_b32 v118, v118, 0, v2
	v_lshrrev_b64 v[2:3], v45, v[2:3]
	v_bfi_b32 v119, v119, 0, 0
	s_delay_alu instid0(VALU_DEP_1) | instskip(NEXT) | instid1(VALU_DEP_3)
	v_cmp_eq_u64_e64 s7, v[118:119], v[46:47]
	v_mov_b64_e32 v[118:119], v[2:3]
	s_and_saveexec_b32 s22, s7
; %bb.729:                              ;   in Loop: Header=BB4_489 Depth=2
	v_bfe_u32 v118, v2, 21, 1
	v_mov_b32_e32 v119, v55
	s_delay_alu instid0(VALU_DEP_1) | instskip(NEXT) | instid1(VALU_DEP_1)
	v_add_nc_u64_e32 v[118:119], v[2:3], v[118:119]
	v_add_nc_u64_e32 v[118:119], -1, v[118:119]
; %bb.730:                              ;   in Loop: Header=BB4_489 Depth=2
	s_or_b32 exec_lo, exec_lo, s22
	v_add_nc_u32_e32 v3, 0xffffff81, v30
	v_lshrrev_b32_e32 v30, 23, v2
	s_mov_b32 s7, exec_lo
	s_delay_alu instid0(VALU_DEP_2) | instskip(NEXT) | instid1(VALU_DEP_1)
	v_cndmask_b32_e64 v3, v3, 0xffffff82, vcc_lo
	v_add3_u32 v119, v45, v3, v30
	v_and_b32_e32 v3, 0x1fffff, v118
                                        ; implicit-def: $vgpr30
	s_delay_alu instid0(VALU_DEP_1) | instskip(SKIP_1) | instid1(VALU_DEP_2)
	v_dual_add_nc_u32 v118, 14, v119 :: v_dual_add_nc_u32 v2, v3, v2
	v_mov_b32_e32 v3, v55
	v_cmpx_ne_u32_e32 0, v118
	s_xor_b32 s7, exec_lo, s7
; %bb.731:                              ;   in Loop: Header=BB4_489 Depth=2
	s_delay_alu instid0(VALU_DEP_2) | instskip(SKIP_1) | instid1(VALU_DEP_1)
	v_cmp_lt_u64_e32 vcc_lo, 0xffffff, v[2:3]
	v_add_nc_u32_e32 v30, 15, v119
	v_cndmask_b32_e32 v30, v118, v30, vcc_lo
	v_cndmask_b32_e64 v118, 0, 1, vcc_lo
	s_delay_alu instid0(VALU_DEP_1)
	v_lshrrev_b64 v[2:3], v118, v[2:3]
; %bb.732:                              ;   in Loop: Header=BB4_489 Depth=2
	s_and_not1_saveexec_b32 s7, s7
; %bb.733:                              ;   in Loop: Header=BB4_489 Depth=2
	s_delay_alu instid0(VALU_DEP_1)
	v_bfe_u32 v30, v2, 23, 1
; %bb.734:                              ;   in Loop: Header=BB4_489 Depth=2
	s_or_b32 exec_lo, exec_lo, s7
	s_delay_alu instid0(VALU_DEP_2) | instskip(NEXT) | instid1(VALU_DEP_2)
	v_lshrrev_b64 v[2:3], 21, v[2:3]
	v_cmp_gt_i32_e32 vcc_lo, 32, v30
	v_min_i32_e32 v118, 31, v30
	v_cmp_eq_u32_e64 s7, 0, v30
	s_delay_alu instid0(VALU_DEP_2) | instskip(SKIP_1) | instid1(VALU_DEP_2)
	v_dual_cndmask_b32 v3, 0, v3 :: v_dual_lshlrev_b32 v118, 2, v118
	v_cndmask_b32_e32 v2, 3, v2, vcc_lo
	v_and_b32_e32 v118, 0xfc, v118
	s_delay_alu instid0(VALU_DEP_2) | instskip(NEXT) | instid1(VALU_DEP_2)
	v_cmp_eq_u64_e32 vcc_lo, 0, v[2:3]
	v_and_or_b32 v2, v2, 3, v118
	s_and_b32 s7, s7, vcc_lo
	s_delay_alu instid0(VALU_DEP_1) | instid1(SALU_CYCLE_1)
	v_cndmask_b32_e64 v2, v2, 0, s7
	s_delay_alu instid0(VALU_DEP_1)
	v_or_b32_e32 v45, v2, v5
.LBB4_735:                              ;   in Loop: Header=BB4_489 Depth=2
	s_or_b32 exec_lo, exec_lo, s21
                                        ; implicit-def: $vgpr5
.LBB4_736:                              ;   in Loop: Header=BB4_489 Depth=2
	s_and_not1_saveexec_b32 s7, s20
; %bb.737:                              ;   in Loop: Header=BB4_489 Depth=2
	v_or_b32_e32 v45, 0x7b, v5
; %bb.738:                              ;   in Loop: Header=BB4_489 Depth=2
	s_or_b32 exec_lo, exec_lo, s7
                                        ; implicit-def: $vgpr30
                                        ; implicit-def: $vgpr2_vgpr3
                                        ; implicit-def: $vgpr5
.LBB4_739:                              ;   in Loop: Header=BB4_489 Depth=2
	s_and_not1_saveexec_b32 s7, s19
	s_cbranch_execz .LBB4_745
; %bb.740:                              ;   in Loop: Header=BB4_489 Depth=2
	s_mov_b32 s19, exec_lo
                                        ; implicit-def: $vgpr45
	v_cmpx_ne_u64_e32 0, v[2:3]
	s_xor_b32 s19, exec_lo, s19
; %bb.741:                              ;   in Loop: Header=BB4_489 Depth=2
	v_or_b32_e32 v45, 0x7f, v5
                                        ; implicit-def: $vgpr30
; %bb.742:                              ;   in Loop: Header=BB4_489 Depth=2
	s_and_not1_saveexec_b32 s19, s19
; %bb.743:                              ;   in Loop: Header=BB4_489 Depth=2
	v_cmp_lt_i32_e32 vcc_lo, -1, v30
	v_cndmask_b32_e32 v45, 0xfc, v58, vcc_lo
; %bb.744:                              ;   in Loop: Header=BB4_489 Depth=2
	s_or_b32 exec_lo, exec_lo, s19
.LBB4_745:                              ;   in Loop: Header=BB4_489 Depth=2
	s_delay_alu instid0(SALU_CYCLE_1) | instskip(SKIP_3) | instid1(VALU_DEP_2)
	s_or_b32 exec_lo, exec_lo, s7
	v_dual_mov_b32 v3, 0 :: v_dual_lshrrev_b32 v2, 16, v4
	v_mov_b32_e32 v5, 0
	s_mov_b32 s7, exec_lo
	v_and_b32_e32 v30, 0xff, v2
	s_delay_alu instid0(VALU_DEP_1)
	v_cmpx_ne_u16_e32 0, v30
	s_cbranch_execz .LBB4_755
; %bb.746:                              ;   in Loop: Header=BB4_489 Depth=2
	v_bfrev_b32_e32 v5, 1
	s_mov_b32 s19, exec_lo
	v_cmpx_ne_u16_e32 0x80, v30
	s_cbranch_execz .LBB4_754
; %bb.747:                              ;   in Loop: Header=BB4_489 Depth=2
	v_and_b32_e32 v5, 0x7c0000, v4
	v_bfe_u32 v30, v4, 16, 2
	s_delay_alu instid0(VALU_DEP_2) | instskip(SKIP_1) | instid1(SALU_CYCLE_1)
	v_cmp_ne_u32_e32 vcc_lo, 0x7c0000, v5
                                        ; implicit-def: $vgpr5
	s_and_saveexec_b32 s20, vcc_lo
	s_xor_b32 s20, exec_lo, s20
	s_cbranch_execz .LBB4_751
; %bb.748:                              ;   in Loop: Header=BB4_489 Depth=2
	v_bfe_u32 v5, v4, 18, 5
	s_mov_b32 s21, exec_lo
	s_delay_alu instid0(VALU_DEP_1)
	v_cmpx_eq_u32_e32 0, v5
; %bb.749:                              ;   in Loop: Header=BB4_489 Depth=2
	v_clz_i32_u32_e32 v5, v30
	s_delay_alu instid0(VALU_DEP_1) | instskip(NEXT) | instid1(VALU_DEP_1)
	v_min_u32_e32 v5, 32, v5
	v_subrev_nc_u32_e32 v30, 29, v5
	s_delay_alu instid0(VALU_DEP_1) | instskip(NEXT) | instid1(VALU_DEP_1)
	v_lshlrev_b64_e32 v[118:119], v30, v[2:3]
	v_dual_sub_nc_u32 v5, 30, v5 :: v_dual_bitop2_b32 v30, 3, v118 bitop3:0x40
; %bb.750:                              ;   in Loop: Header=BB4_489 Depth=2
	s_or_b32 exec_lo, exec_lo, s21
	v_lshlrev_b32_e32 v2, 24, v2
	s_delay_alu instid0(VALU_DEP_1) | instskip(NEXT) | instid1(VALU_DEP_1)
	v_and_b32_e32 v2, 0x80000000, v2
	v_lshl_add_u32 v2, v5, 23, v2
	s_delay_alu instid0(VALU_DEP_1) | instskip(NEXT) | instid1(VALU_DEP_1)
	v_lshl_or_b32 v2, v30, 21, v2
                                        ; implicit-def: $vgpr30
	v_add_nc_u32_e32 v5, 0x38000000, v2
                                        ; implicit-def: $vgpr2
.LBB4_751:                              ;   in Loop: Header=BB4_489 Depth=2
	s_and_not1_saveexec_b32 s20, s20
; %bb.752:                              ;   in Loop: Header=BB4_489 Depth=2
	v_bfe_i32 v2, v2, 0, 8
	s_delay_alu instid0(VALU_DEP_1) | instskip(SKIP_2) | instid1(VALU_DEP_2)
	v_cmp_lt_i16_e32 vcc_lo, -1, v2
	v_cndmask_b32_e32 v2, 0xff800000, v21, vcc_lo
	v_cmp_eq_u32_e32 vcc_lo, 0, v30
	v_cndmask_b32_e32 v5, 0x7f800001, v2, vcc_lo
; %bb.753:                              ;   in Loop: Header=BB4_489 Depth=2
	s_or_b32 exec_lo, exec_lo, s20
.LBB4_754:                              ;   in Loop: Header=BB4_489 Depth=2
	s_delay_alu instid0(SALU_CYCLE_1)
	s_or_b32 exec_lo, exec_lo, s19
.LBB4_755:                              ;   in Loop: Header=BB4_489 Depth=2
	s_delay_alu instid0(SALU_CYCLE_1) | instskip(SKIP_2) | instid1(VALU_DEP_1)
	s_or_b32 exec_lo, exec_lo, s7
	v_lshrrev_b32_e32 v2, 16, v54
	s_mov_b32 s7, exec_lo
	v_and_b32_e32 v30, 0xff, v2
	s_delay_alu instid0(VALU_DEP_1)
	v_cmpx_ne_u16_e32 0, v30
	s_cbranch_execz .LBB4_765
; %bb.756:                              ;   in Loop: Header=BB4_489 Depth=2
	v_bfrev_b32_e32 v3, 1
	s_mov_b32 s19, exec_lo
	v_cmpx_ne_u16_e32 0x80, v30
	s_cbranch_execz .LBB4_764
; %bb.757:                              ;   in Loop: Header=BB4_489 Depth=2
	v_and_b32_e32 v3, 0x7c0000, v54
	v_bfe_u32 v30, v54, 16, 2
	s_delay_alu instid0(VALU_DEP_2) | instskip(SKIP_1) | instid1(SALU_CYCLE_1)
	v_cmp_ne_u32_e32 vcc_lo, 0x7c0000, v3
                                        ; implicit-def: $vgpr3
	s_and_saveexec_b32 s20, vcc_lo
	s_xor_b32 s20, exec_lo, s20
	s_cbranch_execz .LBB4_761
; %bb.758:                              ;   in Loop: Header=BB4_489 Depth=2
	v_bfe_u32 v3, v54, 18, 5
	s_mov_b32 s21, exec_lo
	s_delay_alu instid0(VALU_DEP_1)
	v_cmpx_eq_u32_e32 0, v3
; %bb.759:                              ;   in Loop: Header=BB4_489 Depth=2
	v_clz_i32_u32_e32 v3, v30
	s_delay_alu instid0(VALU_DEP_1) | instskip(NEXT) | instid1(VALU_DEP_1)
	v_min_u32_e32 v3, 32, v3
	v_subrev_nc_u32_e32 v30, 29, v3
	s_delay_alu instid0(VALU_DEP_1) | instskip(NEXT) | instid1(VALU_DEP_1)
	v_lshlrev_b64_e32 v[118:119], v30, v[2:3]
	v_dual_sub_nc_u32 v3, 30, v3 :: v_dual_bitop2_b32 v30, 3, v118 bitop3:0x40
; %bb.760:                              ;   in Loop: Header=BB4_489 Depth=2
	s_or_b32 exec_lo, exec_lo, s21
	v_lshlrev_b32_e32 v2, 24, v2
	s_delay_alu instid0(VALU_DEP_1) | instskip(NEXT) | instid1(VALU_DEP_1)
	v_and_b32_e32 v2, 0x80000000, v2
	v_lshl_add_u32 v2, v3, 23, v2
	s_delay_alu instid0(VALU_DEP_1) | instskip(NEXT) | instid1(VALU_DEP_1)
	v_lshl_or_b32 v2, v30, 21, v2
                                        ; implicit-def: $vgpr30
	v_add_nc_u32_e32 v3, 0x38000000, v2
                                        ; implicit-def: $vgpr2
.LBB4_761:                              ;   in Loop: Header=BB4_489 Depth=2
	s_and_not1_saveexec_b32 s20, s20
; %bb.762:                              ;   in Loop: Header=BB4_489 Depth=2
	v_bfe_i32 v2, v2, 0, 8
	s_delay_alu instid0(VALU_DEP_1) | instskip(SKIP_2) | instid1(VALU_DEP_2)
	v_cmp_lt_i16_e32 vcc_lo, -1, v2
	v_cndmask_b32_e32 v2, 0xff800000, v21, vcc_lo
	v_cmp_eq_u32_e32 vcc_lo, 0, v30
	v_cndmask_b32_e32 v3, 0x7f800001, v2, vcc_lo
; %bb.763:                              ;   in Loop: Header=BB4_489 Depth=2
	s_or_b32 exec_lo, exec_lo, s20
.LBB4_764:                              ;   in Loop: Header=BB4_489 Depth=2
	s_delay_alu instid0(SALU_CYCLE_1)
	s_or_b32 exec_lo, exec_lo, s19
.LBB4_765:                              ;   in Loop: Header=BB4_489 Depth=2
	s_delay_alu instid0(SALU_CYCLE_1) | instskip(NEXT) | instid1(VALU_DEP_1)
	s_or_b32 exec_lo, exec_lo, s7
	v_dual_mul_f32 v30, v5, v3 :: v_dual_mov_b32 v119, v55
	s_delay_alu instid0(VALU_DEP_1) | instskip(SKIP_2) | instid1(VALU_DEP_2)
	v_dual_mov_b32 v3, v55 :: v_dual_lshrrev_b32 v5, 24, v30
	v_and_b32_e32 v118, 0x7f800000, v30
	v_and_b32_e32 v2, 0x7fffff, v30
	v_cmp_ne_u64_e32 vcc_lo, 0x7f800000, v[118:119]
                                        ; implicit-def: $vgpr118
	s_and_saveexec_b32 s7, vcc_lo
	s_delay_alu instid0(SALU_CYCLE_1)
	s_xor_b32 s19, exec_lo, s7
	s_cbranch_execz .LBB4_779
; %bb.766:                              ;   in Loop: Header=BB4_489 Depth=2
	v_and_b32_e32 v118, 0x7fffffff, v30
	v_mov_b32_e32 v119, v55
	v_and_b32_e32 v5, 0x80, v5
	s_delay_alu instid0(VALU_DEP_2) | instskip(SKIP_1) | instid1(SALU_CYCLE_1)
	v_cmp_gt_u64_e32 vcc_lo, 0x47600001, v[118:119]
                                        ; implicit-def: $vgpr118
	s_and_saveexec_b32 s7, vcc_lo
	s_xor_b32 s20, exec_lo, s7
	s_cbranch_execz .LBB4_776
; %bb.767:                              ;   in Loop: Header=BB4_489 Depth=2
	v_mov_b32_e32 v118, 0
	s_mov_b32 s21, exec_lo
	v_cmpx_ne_u32_e32 0, v30
	s_cbranch_execz .LBB4_775
; %bb.768:                              ;   in Loop: Header=BB4_489 Depth=2
	v_bfe_u32 v30, v30, 23, 8
	v_or_b32_e32 v47, 0x800000, v2
	s_delay_alu instid0(VALU_DEP_2) | instskip(SKIP_1) | instid1(VALU_DEP_2)
	v_sub_nc_u32_e32 v118, 0x71, v30
	v_cmp_gt_u32_e32 vcc_lo, 0x72, v30
	v_cndmask_b32_e32 v118, 0, v118, vcc_lo
	v_cmp_eq_u32_e32 vcc_lo, 0, v30
	s_delay_alu instid0(VALU_DEP_2) | instskip(SKIP_1) | instid1(VALU_DEP_2)
	v_cndmask_b32_e64 v46, v118, 0x70, vcc_lo
	v_cndmask_b32_e32 v2, v47, v2, vcc_lo
	v_dual_add_nc_u32 v118, 21, v46 :: v_dual_add_nc_u32 v61, 20, v46
	s_delay_alu instid0(VALU_DEP_1) | instskip(NEXT) | instid1(VALU_DEP_2)
	v_lshlrev_b64_e64 v[118:119], v118, -1
	v_lshlrev_b64_e64 v[62:63], v61, 1
	s_delay_alu instid0(VALU_DEP_2) | instskip(SKIP_1) | instid1(VALU_DEP_4)
	v_bfi_b32 v118, v118, 0, v2
	v_lshrrev_b64 v[2:3], v46, v[2:3]
	v_bfi_b32 v119, v119, 0, 0
	s_delay_alu instid0(VALU_DEP_1) | instskip(NEXT) | instid1(VALU_DEP_3)
	v_cmp_eq_u64_e64 s7, v[118:119], v[62:63]
	v_mov_b64_e32 v[118:119], v[2:3]
	s_and_saveexec_b32 s22, s7
; %bb.769:                              ;   in Loop: Header=BB4_489 Depth=2
	v_bfe_u32 v118, v2, 21, 1
	v_mov_b32_e32 v119, v55
	s_delay_alu instid0(VALU_DEP_1) | instskip(NEXT) | instid1(VALU_DEP_1)
	v_add_nc_u64_e32 v[118:119], v[2:3], v[118:119]
	v_add_nc_u64_e32 v[118:119], -1, v[118:119]
; %bb.770:                              ;   in Loop: Header=BB4_489 Depth=2
	s_or_b32 exec_lo, exec_lo, s22
	v_add_nc_u32_e32 v3, 0xffffff81, v30
	v_lshrrev_b32_e32 v30, 23, v2
	s_mov_b32 s7, exec_lo
	s_delay_alu instid0(VALU_DEP_2) | instskip(NEXT) | instid1(VALU_DEP_1)
	v_cndmask_b32_e64 v3, v3, 0xffffff82, vcc_lo
	v_add3_u32 v119, v46, v3, v30
	v_and_b32_e32 v3, 0x1fffff, v118
                                        ; implicit-def: $vgpr30
	s_delay_alu instid0(VALU_DEP_1) | instskip(SKIP_1) | instid1(VALU_DEP_2)
	v_dual_add_nc_u32 v118, 14, v119 :: v_dual_add_nc_u32 v2, v3, v2
	v_mov_b32_e32 v3, v55
	v_cmpx_ne_u32_e32 0, v118
	s_xor_b32 s7, exec_lo, s7
; %bb.771:                              ;   in Loop: Header=BB4_489 Depth=2
	s_delay_alu instid0(VALU_DEP_2) | instskip(SKIP_1) | instid1(VALU_DEP_1)
	v_cmp_lt_u64_e32 vcc_lo, 0xffffff, v[2:3]
	v_add_nc_u32_e32 v30, 15, v119
	v_cndmask_b32_e32 v30, v118, v30, vcc_lo
	v_cndmask_b32_e64 v118, 0, 1, vcc_lo
	s_delay_alu instid0(VALU_DEP_1)
	v_lshrrev_b64 v[2:3], v118, v[2:3]
; %bb.772:                              ;   in Loop: Header=BB4_489 Depth=2
	s_and_not1_saveexec_b32 s7, s7
; %bb.773:                              ;   in Loop: Header=BB4_489 Depth=2
	s_delay_alu instid0(VALU_DEP_1)
	v_bfe_u32 v30, v2, 23, 1
; %bb.774:                              ;   in Loop: Header=BB4_489 Depth=2
	s_or_b32 exec_lo, exec_lo, s7
	s_delay_alu instid0(VALU_DEP_2) | instskip(NEXT) | instid1(VALU_DEP_2)
	v_lshrrev_b64 v[2:3], 21, v[2:3]
	v_cmp_gt_i32_e32 vcc_lo, 32, v30
	v_min_i32_e32 v118, 31, v30
	v_cmp_eq_u32_e64 s7, 0, v30
	s_delay_alu instid0(VALU_DEP_2) | instskip(SKIP_1) | instid1(VALU_DEP_2)
	v_dual_cndmask_b32 v3, 0, v3 :: v_dual_lshlrev_b32 v118, 2, v118
	v_cndmask_b32_e32 v2, 3, v2, vcc_lo
	v_and_b32_e32 v118, 0xfc, v118
	s_delay_alu instid0(VALU_DEP_2) | instskip(NEXT) | instid1(VALU_DEP_2)
	v_cmp_eq_u64_e32 vcc_lo, 0, v[2:3]
	v_and_or_b32 v2, v2, 3, v118
	s_and_b32 s7, s7, vcc_lo
	s_delay_alu instid0(VALU_DEP_1) | instid1(SALU_CYCLE_1)
	v_cndmask_b32_e64 v2, v2, 0, s7
	s_delay_alu instid0(VALU_DEP_1)
	v_or_b32_e32 v118, v2, v5
.LBB4_775:                              ;   in Loop: Header=BB4_489 Depth=2
	s_or_b32 exec_lo, exec_lo, s21
                                        ; implicit-def: $vgpr5
.LBB4_776:                              ;   in Loop: Header=BB4_489 Depth=2
	s_and_not1_saveexec_b32 s7, s20
; %bb.777:                              ;   in Loop: Header=BB4_489 Depth=2
	v_or_b32_e32 v118, 0x7b, v5
; %bb.778:                              ;   in Loop: Header=BB4_489 Depth=2
	s_or_b32 exec_lo, exec_lo, s7
                                        ; implicit-def: $vgpr30
                                        ; implicit-def: $vgpr2_vgpr3
                                        ; implicit-def: $vgpr5
.LBB4_779:                              ;   in Loop: Header=BB4_489 Depth=2
	s_and_not1_saveexec_b32 s7, s19
	s_cbranch_execz .LBB4_785
; %bb.780:                              ;   in Loop: Header=BB4_489 Depth=2
	s_mov_b32 s19, exec_lo
                                        ; implicit-def: $vgpr118
	v_cmpx_ne_u64_e32 0, v[2:3]
	s_xor_b32 s19, exec_lo, s19
; %bb.781:                              ;   in Loop: Header=BB4_489 Depth=2
	v_or_b32_e32 v118, 0x7f, v5
                                        ; implicit-def: $vgpr30
; %bb.782:                              ;   in Loop: Header=BB4_489 Depth=2
	s_and_not1_saveexec_b32 s19, s19
; %bb.783:                              ;   in Loop: Header=BB4_489 Depth=2
	v_cmp_lt_i32_e32 vcc_lo, -1, v30
	v_cndmask_b32_e32 v118, 0xfc, v58, vcc_lo
; %bb.784:                              ;   in Loop: Header=BB4_489 Depth=2
	s_or_b32 exec_lo, exec_lo, s19
.LBB4_785:                              ;   in Loop: Header=BB4_489 Depth=2
	s_delay_alu instid0(SALU_CYCLE_1) | instskip(SKIP_3) | instid1(VALU_DEP_2)
	s_or_b32 exec_lo, exec_lo, s7
	v_dual_mov_b32 v2, v55 :: v_dual_mov_b32 v3, v4
	v_dual_mov_b32 v5, 0 :: v_dual_mov_b32 v119, 0
	s_mov_b32 s7, exec_lo
	v_cmpx_lt_u64_e64 s[12:13], v[2:3]
	s_cbranch_execz .LBB4_795
; %bb.786:                              ;   in Loop: Header=BB4_489 Depth=2
	v_lshrrev_b32_e32 v30, 24, v4
	v_bfrev_b32_e32 v119, 1
	s_mov_b32 s19, exec_lo
	s_delay_alu instid0(VALU_DEP_2)
	v_cmpx_ne_u32_e32 0x80, v30
	s_cbranch_execz .LBB4_794
; %bb.787:                              ;   in Loop: Header=BB4_489 Depth=2
	v_and_b32_e32 v119, 0x7c000000, v4
	v_bfe_u32 v46, v4, 24, 2
	s_delay_alu instid0(VALU_DEP_2) | instskip(SKIP_1) | instid1(SALU_CYCLE_1)
	v_cmp_ne_u32_e32 vcc_lo, 0x7c000000, v119
                                        ; implicit-def: $vgpr119
	s_and_saveexec_b32 s20, vcc_lo
	s_xor_b32 s20, exec_lo, s20
	s_cbranch_execz .LBB4_791
; %bb.788:                              ;   in Loop: Header=BB4_489 Depth=2
	v_bfe_u32 v2, v4, 26, 5
	s_mov_b32 s21, exec_lo
	s_delay_alu instid0(VALU_DEP_1)
	v_cmpx_eq_u32_e32 0, v2
; %bb.789:                              ;   in Loop: Header=BB4_489 Depth=2
	v_clz_i32_u32_e32 v2, v46
	s_delay_alu instid0(VALU_DEP_1) | instskip(NEXT) | instid1(VALU_DEP_1)
	v_min_u32_e32 v2, 32, v2
	v_subrev_nc_u32_e32 v3, 29, v2
	v_sub_nc_u32_e32 v2, 30, v2
	s_delay_alu instid0(VALU_DEP_2) | instskip(NEXT) | instid1(VALU_DEP_1)
	v_lshlrev_b64_e32 v[46:47], v3, v[30:31]
	v_and_b32_e32 v46, 3, v46
; %bb.790:                              ;   in Loop: Header=BB4_489 Depth=2
	s_or_b32 exec_lo, exec_lo, s21
	v_and_b32_e32 v3, 0x80000000, v4
	s_delay_alu instid0(VALU_DEP_1) | instskip(NEXT) | instid1(VALU_DEP_1)
	v_lshl_add_u32 v2, v2, 23, v3
	v_lshl_or_b32 v2, v46, 21, v2
                                        ; implicit-def: $vgpr46
	s_delay_alu instid0(VALU_DEP_1)
	v_add_nc_u32_e32 v119, 0x38000000, v2
                                        ; implicit-def: $vgpr2_vgpr3
.LBB4_791:                              ;   in Loop: Header=BB4_489 Depth=2
	s_and_not1_saveexec_b32 s20, s20
; %bb.792:                              ;   in Loop: Header=BB4_489 Depth=2
	v_cmp_lt_i64_e32 vcc_lo, -1, v[2:3]
	v_cndmask_b32_e32 v2, 0xff800000, v21, vcc_lo
	v_cmp_eq_u32_e32 vcc_lo, 0, v46
	s_delay_alu instid0(VALU_DEP_2)
	v_cndmask_b32_e32 v119, 0x7f800001, v2, vcc_lo
; %bb.793:                              ;   in Loop: Header=BB4_489 Depth=2
	s_or_b32 exec_lo, exec_lo, s20
.LBB4_794:                              ;   in Loop: Header=BB4_489 Depth=2
	s_delay_alu instid0(SALU_CYCLE_1)
	s_or_b32 exec_lo, exec_lo, s19
.LBB4_795:                              ;   in Loop: Header=BB4_489 Depth=2
	s_delay_alu instid0(SALU_CYCLE_1) | instskip(NEXT) | instid1(SALU_CYCLE_1)
	s_or_b32 exec_lo, exec_lo, s7
	s_mov_b32 s7, exec_lo
	v_cmpx_lt_u32_e32 0xffffff, v54
	s_cbranch_execz .LBB4_805
; %bb.796:                              ;   in Loop: Header=BB4_489 Depth=2
	v_lshrrev_b32_e32 v2, 24, v54
	v_bfrev_b32_e32 v5, 1
	s_mov_b32 s19, exec_lo
	s_delay_alu instid0(VALU_DEP_2)
	v_cmpx_ne_u32_e32 0x80, v2
	s_cbranch_execz .LBB4_804
; %bb.797:                              ;   in Loop: Header=BB4_489 Depth=2
	v_and_b32_e32 v4, 0x7c000000, v54
	v_bfe_u32 v3, v54, 24, 2
	s_mov_b32 s20, exec_lo
                                        ; implicit-def: $vgpr5
	s_delay_alu instid0(VALU_DEP_2)
	v_cmpx_ne_u32_e32 0x7c000000, v4
	s_xor_b32 s20, exec_lo, s20
	s_cbranch_execz .LBB4_801
; %bb.798:                              ;   in Loop: Header=BB4_489 Depth=2
	v_bfe_u32 v4, v54, 26, 5
	s_mov_b32 s21, exec_lo
	s_delay_alu instid0(VALU_DEP_1)
	v_cmpx_eq_u32_e32 0, v4
; %bb.799:                              ;   in Loop: Header=BB4_489 Depth=2
	v_clz_i32_u32_e32 v3, v3
	s_delay_alu instid0(VALU_DEP_1) | instskip(NEXT) | instid1(VALU_DEP_1)
	v_min_u32_e32 v4, 32, v3
	v_subrev_nc_u32_e32 v3, 29, v4
	s_delay_alu instid0(VALU_DEP_1) | instskip(NEXT) | instid1(VALU_DEP_1)
	v_lshlrev_b64_e32 v[2:3], v3, v[2:3]
	v_dual_sub_nc_u32 v4, 30, v4 :: v_dual_bitop2_b32 v3, 3, v2 bitop3:0x40
; %bb.800:                              ;   in Loop: Header=BB4_489 Depth=2
	s_or_b32 exec_lo, exec_lo, s21
	v_and_b32_e32 v2, 0x80000000, v54
	s_delay_alu instid0(VALU_DEP_1) | instskip(NEXT) | instid1(VALU_DEP_1)
	v_lshl_add_u32 v2, v4, 23, v2
	v_lshl_or_b32 v2, v3, 21, v2
                                        ; implicit-def: $vgpr3
	s_delay_alu instid0(VALU_DEP_1)
	v_add_nc_u32_e32 v5, 0x38000000, v2
.LBB4_801:                              ;   in Loop: Header=BB4_489 Depth=2
	s_and_not1_saveexec_b32 s20, s20
; %bb.802:                              ;   in Loop: Header=BB4_489 Depth=2
	v_cmp_lt_i32_e32 vcc_lo, -1, v54
	v_cndmask_b32_e32 v2, 0xff800000, v21, vcc_lo
	v_cmp_eq_u32_e32 vcc_lo, 0, v3
	s_delay_alu instid0(VALU_DEP_2)
	v_cndmask_b32_e32 v5, 0x7f800001, v2, vcc_lo
; %bb.803:                              ;   in Loop: Header=BB4_489 Depth=2
	s_or_b32 exec_lo, exec_lo, s20
.LBB4_804:                              ;   in Loop: Header=BB4_489 Depth=2
	s_delay_alu instid0(SALU_CYCLE_1)
	s_or_b32 exec_lo, exec_lo, s19
.LBB4_805:                              ;   in Loop: Header=BB4_489 Depth=2
	s_delay_alu instid0(SALU_CYCLE_1) | instskip(NEXT) | instid1(VALU_DEP_1)
	s_or_b32 exec_lo, exec_lo, s7
	v_mul_f32_e32 v3, v119, v5
	v_mov_b32_e32 v5, v55
                                        ; implicit-def: $vgpr2
	s_delay_alu instid0(VALU_DEP_2) | instskip(SKIP_1) | instid1(VALU_DEP_2)
	v_and_b32_e32 v4, 0x7f800000, v3
	v_and_b32_e32 v54, 0x7fffff, v3
	v_cmp_ne_u64_e32 vcc_lo, 0x7f800000, v[4:5]
	v_lshrrev_b32_e32 v4, 24, v3
	s_and_saveexec_b32 s7, vcc_lo
	s_delay_alu instid0(SALU_CYCLE_1)
	s_xor_b32 s19, exec_lo, s7
	s_cbranch_execz .LBB4_819
; %bb.806:                              ;   in Loop: Header=BB4_489 Depth=2
	v_and_b32_e32 v46, 0x7fffffff, v3
	v_mov_b32_e32 v47, v55
	v_and_b32_e32 v30, 0x80, v4
                                        ; implicit-def: $vgpr2
	s_mov_b32 s7, exec_lo
	s_delay_alu instid0(VALU_DEP_2)
	v_cmpx_gt_u64_e32 0x47600001, v[46:47]
	s_xor_b32 s20, exec_lo, s7
	s_cbranch_execz .LBB4_816
; %bb.807:                              ;   in Loop: Header=BB4_489 Depth=2
	v_mov_b32_e32 v2, 0
	s_mov_b32 s21, exec_lo
	v_cmpx_ne_u32_e32 0, v3
	s_cbranch_execz .LBB4_815
; %bb.808:                              ;   in Loop: Header=BB4_489 Depth=2
	v_bfe_u32 v119, v3, 23, 8
	v_or_b32_e32 v4, 0x800000, v54
	s_delay_alu instid0(VALU_DEP_2) | instskip(SKIP_1) | instid1(VALU_DEP_2)
	v_sub_nc_u32_e32 v2, 0x71, v119
	v_cmp_gt_u32_e32 vcc_lo, 0x72, v119
	v_cndmask_b32_e32 v2, 0, v2, vcc_lo
	v_cmp_eq_u32_e32 vcc_lo, 0, v119
	s_delay_alu instid0(VALU_DEP_2) | instskip(SKIP_1) | instid1(VALU_DEP_2)
	v_cndmask_b32_e64 v46, v2, 0x70, vcc_lo
	v_cndmask_b32_e32 v54, v4, v54, vcc_lo
	v_dual_add_nc_u32 v2, 21, v46 :: v_dual_add_nc_u32 v5, 20, v46
	s_delay_alu instid0(VALU_DEP_1) | instskip(NEXT) | instid1(VALU_DEP_2)
	v_lshlrev_b64_e64 v[2:3], v2, -1
	v_lshlrev_b64_e64 v[4:5], v5, 1
	s_delay_alu instid0(VALU_DEP_2) | instskip(NEXT) | instid1(VALU_DEP_3)
	v_bfi_b32 v63, v3, 0, 0
	v_bfi_b32 v62, v2, 0, v54
	v_lshrrev_b64 v[2:3], v46, v[54:55]
	s_delay_alu instid0(VALU_DEP_2) | instskip(NEXT) | instid1(VALU_DEP_2)
	v_cmp_eq_u64_e64 s7, v[62:63], v[4:5]
	v_mov_b64_e32 v[4:5], v[2:3]
	s_and_saveexec_b32 s22, s7
; %bb.809:                              ;   in Loop: Header=BB4_489 Depth=2
	v_bfe_u32 v54, v2, 21, 1
	s_delay_alu instid0(VALU_DEP_1) | instskip(NEXT) | instid1(VALU_DEP_1)
	v_add_nc_u64_e32 v[4:5], v[2:3], v[54:55]
	v_add_nc_u64_e32 v[4:5], -1, v[4:5]
; %bb.810:                              ;   in Loop: Header=BB4_489 Depth=2
	s_or_b32 exec_lo, exec_lo, s22
	v_add_nc_u32_e32 v3, 0xffffff81, v119
	v_lshrrev_b32_e32 v5, 23, v2
	s_mov_b32 s7, exec_lo
	s_delay_alu instid0(VALU_DEP_2) | instskip(NEXT) | instid1(VALU_DEP_1)
	v_cndmask_b32_e64 v3, v3, 0xffffff82, vcc_lo
	v_add3_u32 v5, v46, v3, v5
	v_and_b32_e32 v3, 0x1fffff, v4
                                        ; implicit-def: $vgpr4
	s_delay_alu instid0(VALU_DEP_1) | instskip(NEXT) | instid1(VALU_DEP_1)
	v_dual_add_nc_u32 v119, 14, v5 :: v_dual_add_nc_u32 v54, v3, v2
                                        ; implicit-def: $vgpr2_vgpr3
	v_cmpx_ne_u32_e32 0, v119
	s_xor_b32 s7, exec_lo, s7
; %bb.811:                              ;   in Loop: Header=BB4_489 Depth=2
	s_delay_alu instid0(VALU_DEP_2) | instskip(SKIP_1) | instid1(VALU_DEP_1)
	v_cmp_lt_u64_e32 vcc_lo, 0xffffff, v[54:55]
	v_add_nc_u32_e32 v2, 15, v5
	v_cndmask_b32_e32 v4, v119, v2, vcc_lo
	v_cndmask_b32_e64 v2, 0, 1, vcc_lo
	s_delay_alu instid0(VALU_DEP_1)
	v_lshrrev_b64 v[2:3], v2, v[54:55]
; %bb.812:                              ;   in Loop: Header=BB4_489 Depth=2
	s_and_not1_saveexec_b32 s7, s7
; %bb.813:                              ;   in Loop: Header=BB4_489 Depth=2
	v_mov_b64_e32 v[2:3], v[54:55]
	v_bfe_u32 v4, v54, 23, 1
; %bb.814:                              ;   in Loop: Header=BB4_489 Depth=2
	s_or_b32 exec_lo, exec_lo, s7
	s_delay_alu instid0(VALU_DEP_2) | instskip(NEXT) | instid1(VALU_DEP_2)
	v_lshrrev_b64 v[2:3], 21, v[2:3]
	v_cmp_gt_i32_e32 vcc_lo, 32, v4
	v_min_i32_e32 v5, 31, v4
	v_cmp_eq_u32_e64 s7, 0, v4
	s_delay_alu instid0(VALU_DEP_2) | instskip(SKIP_1) | instid1(VALU_DEP_2)
	v_dual_cndmask_b32 v3, 0, v3, vcc_lo :: v_dual_lshlrev_b32 v5, 2, v5
	v_cndmask_b32_e32 v2, 3, v2, vcc_lo
	v_and_b32_e32 v5, 0xfc, v5
	s_delay_alu instid0(VALU_DEP_2) | instskip(NEXT) | instid1(VALU_DEP_2)
	v_cmp_eq_u64_e32 vcc_lo, 0, v[2:3]
	v_and_or_b32 v2, v2, 3, v5
	s_and_b32 s7, s7, vcc_lo
	s_delay_alu instid0(VALU_DEP_1) | instid1(SALU_CYCLE_1)
	v_cndmask_b32_e64 v2, v2, 0, s7
	s_delay_alu instid0(VALU_DEP_1)
	v_or_b32_e32 v2, v2, v30
.LBB4_815:                              ;   in Loop: Header=BB4_489 Depth=2
	s_or_b32 exec_lo, exec_lo, s21
                                        ; implicit-def: $vgpr30
.LBB4_816:                              ;   in Loop: Header=BB4_489 Depth=2
	s_and_not1_saveexec_b32 s7, s20
; %bb.817:                              ;   in Loop: Header=BB4_489 Depth=2
	v_or_b32_e32 v2, 0x7b, v30
; %bb.818:                              ;   in Loop: Header=BB4_489 Depth=2
	s_or_b32 exec_lo, exec_lo, s7
                                        ; implicit-def: $vgpr3
                                        ; implicit-def: $vgpr4
.LBB4_819:                              ;   in Loop: Header=BB4_489 Depth=2
	s_and_not1_saveexec_b32 s7, s19
	s_cbranch_execz .LBB4_825
; %bb.820:                              ;   in Loop: Header=BB4_489 Depth=2
	s_mov_b32 s19, exec_lo
                                        ; implicit-def: $vgpr2
	v_cmpx_ne_u64_e32 0, v[54:55]
	s_xor_b32 s19, exec_lo, s19
; %bb.821:                              ;   in Loop: Header=BB4_489 Depth=2
	v_or_b32_e32 v2, 0x7f, v4
                                        ; implicit-def: $vgpr3
; %bb.822:                              ;   in Loop: Header=BB4_489 Depth=2
	s_and_not1_saveexec_b32 s19, s19
; %bb.823:                              ;   in Loop: Header=BB4_489 Depth=2
	v_cmp_lt_i32_e32 vcc_lo, -1, v3
	v_cndmask_b32_e32 v2, 0xfc, v58, vcc_lo
; %bb.824:                              ;   in Loop: Header=BB4_489 Depth=2
	s_or_b32 exec_lo, exec_lo, s19
.LBB4_825:                              ;   in Loop: Header=BB4_489 Depth=2
	s_delay_alu instid0(SALU_CYCLE_1) | instskip(SKIP_1) | instid1(VALU_DEP_2)
	s_or_b32 exec_lo, exec_lo, s7
	v_dual_lshlrev_b32 v3, 16, v40 :: v_dual_lshlrev_b32 v4, 16, v118
	v_dual_lshlrev_b32 v5, 24, v41 :: v_dual_lshlrev_b32 v30, 24, v2
	v_cmp_lt_u32_e32 vcc_lo, 7, v60
	s_delay_alu instid0(VALU_DEP_3) | instskip(NEXT) | instid1(VALU_DEP_4)
	v_lshl_or_b32 v2, v43, 8, v3
	v_lshl_or_b32 v3, v45, 8, v4
	s_mov_b32 s7, -1
	s_cmp_lg_u32 vcc_lo, exec_lo
	s_delay_alu instid0(VALU_DEP_2) | instskip(NEXT) | instid1(VALU_DEP_2)
	v_or3_b32 v2, v2, v5, v117
	v_or3_b32 v3, v3, v30, v44
	s_cbranch_scc0 .LBB4_841
; %bb.826:                              ;   in Loop: Header=BB4_489 Depth=2
	s_mov_b32 s19, exec_lo
	flat_store_b8 v[18:19], v117
	s_wait_xcnt 0x0
	v_cmpx_ne_u32_e32 1, v60
	s_cbranch_execz .LBB4_828
; %bb.827:                              ;   in Loop: Header=BB4_489 Depth=2
	v_lshrrev_b32_e32 v4, 8, v2
	flat_store_b8 v[18:19], v4 offset:1
.LBB4_828:                              ;   in Loop: Header=BB4_489 Depth=2
	s_wait_xcnt 0x0
	s_or_b32 exec_lo, exec_lo, s19
	s_delay_alu instid0(SALU_CYCLE_1)
	s_mov_b32 s19, exec_lo
	v_cmpx_lt_u32_e32 2, v60
	s_cbranch_execz .LBB4_830
; %bb.829:                              ;   in Loop: Header=BB4_489 Depth=2
	flat_store_d16_hi_b8 v[18:19], v2 offset:2
.LBB4_830:                              ;   in Loop: Header=BB4_489 Depth=2
	s_wait_xcnt 0x0
	s_or_b32 exec_lo, exec_lo, s19
	s_delay_alu instid0(SALU_CYCLE_1)
	s_mov_b32 s19, exec_lo
	v_cmpx_lt_u32_e32 3, v60
	s_cbranch_execz .LBB4_832
; %bb.831:                              ;   in Loop: Header=BB4_489 Depth=2
	v_lshrrev_b32_e32 v4, 24, v2
	flat_store_b8 v[18:19], v4 offset:3
.LBB4_832:                              ;   in Loop: Header=BB4_489 Depth=2
	s_wait_xcnt 0x0
	s_or_b32 exec_lo, exec_lo, s19
	s_delay_alu instid0(SALU_CYCLE_1)
	s_mov_b32 s19, exec_lo
	v_cmpx_lt_u32_e32 4, v60
	s_cbranch_execz .LBB4_834
; %bb.833:                              ;   in Loop: Header=BB4_489 Depth=2
	flat_store_b8 v[18:19], v44 offset:4
.LBB4_834:                              ;   in Loop: Header=BB4_489 Depth=2
	s_wait_xcnt 0x0
	s_or_b32 exec_lo, exec_lo, s19
	s_delay_alu instid0(SALU_CYCLE_1)
	s_mov_b32 s19, exec_lo
	v_cmpx_lt_u32_e32 5, v60
	s_cbranch_execz .LBB4_836
; %bb.835:                              ;   in Loop: Header=BB4_489 Depth=2
	v_lshrrev_b32_e32 v4, 8, v3
	flat_store_b8 v[18:19], v4 offset:5
.LBB4_836:                              ;   in Loop: Header=BB4_489 Depth=2
	s_wait_xcnt 0x0
	s_or_b32 exec_lo, exec_lo, s19
	s_delay_alu instid0(SALU_CYCLE_1)
	s_mov_b32 s19, exec_lo
	v_cmpx_lt_u32_e32 6, v60
	s_cbranch_execz .LBB4_838
; %bb.837:                              ;   in Loop: Header=BB4_489 Depth=2
	flat_store_d16_hi_b8 v[18:19], v3 offset:6
.LBB4_838:                              ;   in Loop: Header=BB4_489 Depth=2
	s_wait_xcnt 0x0
	s_or_b32 exec_lo, exec_lo, s19
	s_and_saveexec_b32 s7, vcc_lo
	s_cbranch_execz .LBB4_840
; %bb.839:                              ;   in Loop: Header=BB4_489 Depth=2
	v_lshrrev_b32_e32 v4, 24, v3
	flat_store_b8 v[18:19], v4 offset:7
.LBB4_840:                              ;   in Loop: Header=BB4_489 Depth=2
	s_wait_xcnt 0x0
	s_or_b32 exec_lo, exec_lo, s7
	s_mov_b32 s7, 0
.LBB4_841:                              ;   in Loop: Header=BB4_489 Depth=2
	s_delay_alu instid0(SALU_CYCLE_1)
	s_and_b32 vcc_lo, exec_lo, s7
	s_cbranch_vccz .LBB4_488
; %bb.842:                              ;   in Loop: Header=BB4_489 Depth=2
	global_store_b64 v[18:19], v[2:3], off
	s_branch .LBB4_488
.LBB4_843:                              ;   in Loop: Header=BB4_36 Depth=1
	s_or_b32 exec_lo, exec_lo, s18
	s_delay_alu instid0(SALU_CYCLE_1)
	s_or_b32 exec_lo, exec_lo, s8
	s_and_saveexec_b32 s7, s3
	s_cbranch_execz .LBB4_486
.LBB4_844:                              ;   in Loop: Header=BB4_36 Depth=1
	s_and_saveexec_b32 s8, s4
	s_delay_alu instid0(SALU_CYCLE_1)
	s_xor_b32 s8, exec_lo, s8
	s_cbranch_execz .LBB4_859
; %bb.845:                              ;   in Loop: Header=BB4_36 Depth=1
	s_and_saveexec_b32 s18, s5
	s_cbranch_execz .LBB4_858
; %bb.846:                              ;   in Loop: Header=BB4_36 Depth=1
	s_mov_b32 s20, exec_lo
	s_mov_b32 s19, exec_lo
	v_mbcnt_lo_u32_b32 v2, s20, 0
	global_wb scope:SCOPE_DEV
	s_wait_storecnt 0x0
	s_wait_loadcnt_dscnt 0x0
	global_inv scope:SCOPE_DEV
	v_cmpx_eq_u32_e32 0, v2
	s_cbranch_execz .LBB4_848
; %bb.847:                              ;   in Loop: Header=BB4_36 Depth=1
	s_bcnt1_i32_b32 s20, s20
	s_delay_alu instid0(SALU_CYCLE_1)
	v_mov_b32_e32 v54, s20
	s_wait_loadcnt 0x0
	ds_add_u64 v0, v[54:55]
	s_trap 2
.LBB4_848:                              ;   in Loop: Header=BB4_36 Depth=1
	s_or_b32 exec_lo, exec_lo, s19
	s_trap 2
	ds_load_b64 v[2:3], v0
	s_wait_dscnt 0x0
	v_add_nc_u64_e32 v[52:53], v[52:53], v[84:85]
	s_mov_b32 s19, exec_lo
	s_delay_alu instid0(VALU_DEP_1)
	v_cmpx_lt_u64_e64 v[2:3], v[52:53]
	s_cbranch_execz .LBB4_857
; %bb.849:                              ;   in Loop: Header=BB4_36 Depth=1
	s_mov_b32 s20, 0
	s_mov_b32 s23, 0
                                        ; implicit-def: $sgpr21
                                        ; implicit-def: $sgpr22
	s_branch .LBB4_851
.LBB4_850:                              ;   in Loop: Header=BB4_851 Depth=2
	s_or_b32 exec_lo, exec_lo, s25
	s_delay_alu instid0(SALU_CYCLE_1) | instskip(NEXT) | instid1(SALU_CYCLE_1)
	s_and_b32 s24, exec_lo, s26
	s_or_b32 s20, s24, s20
	s_and_not1_b32 s21, s21, exec_lo
	s_and_b32 s24, s22, exec_lo
	s_delay_alu instid0(SALU_CYCLE_1)
	s_or_b32 s21, s21, s24
	s_and_not1_b32 exec_lo, exec_lo, s20
	s_cbranch_execz .LBB4_855
.LBB4_851:                              ;   Parent Loop BB4_36 Depth=1
                                        ; =>  This Inner Loop Header: Depth=2
	s_add_co_i32 s23, s23, 1
	s_delay_alu instid0(SALU_CYCLE_1) | instskip(SKIP_1) | instid1(SALU_CYCLE_1)
	s_cmp_lg_u32 s23, 0x2710
	s_cselect_b32 s24, -1, 0
	s_and_b32 vcc_lo, exec_lo, s24
	s_cbranch_vccz .LBB4_853
; %bb.852:                              ;   in Loop: Header=BB4_851 Depth=2
	s_mov_b32 s26, -1
	s_or_b32 s22, s22, exec_lo
	s_and_saveexec_b32 s25, s24
	s_cbranch_execz .LBB4_850
	s_branch .LBB4_854
.LBB4_853:                              ;   in Loop: Header=BB4_851 Depth=2
	s_trap 2
	ds_load_b64 v[2:3], v0
	s_and_not1_b32 s24, s24, exec_lo
	s_mov_b32 s23, 0
	s_wait_loadcnt_dscnt 0x0
	flat_load_b32 v2, v[2:3] scope:SCOPE_SYS
	s_wait_loadcnt_dscnt 0x0
	global_inv scope:SCOPE_SYS
	v_cmp_eq_u32_e32 vcc_lo, 0, v2
	s_and_b32 s25, vcc_lo, exec_lo
	s_delay_alu instid0(SALU_CYCLE_1)
	s_or_b32 s24, s24, s25
	s_mov_b32 s26, -1
	s_or_b32 s22, s22, exec_lo
	s_and_saveexec_b32 s25, s24
	s_cbranch_execz .LBB4_850
.LBB4_854:                              ;   in Loop: Header=BB4_851 Depth=2
	s_sleep 1
	s_trap 2
	ds_load_b64 v[2:3], v0
	s_wait_dscnt 0x0
	s_and_not1_b32 s22, s22, exec_lo
	v_cmp_ge_u64_e32 vcc_lo, v[2:3], v[52:53]
	s_or_not1_b32 s26, vcc_lo, exec_lo
	s_branch .LBB4_850
.LBB4_855:                              ;   in Loop: Header=BB4_36 Depth=1
	s_or_b32 exec_lo, exec_lo, s20
	s_and_saveexec_b32 s20, s21
	s_delay_alu instid0(SALU_CYCLE_1)
	s_xor_b32 s20, exec_lo, s20
	s_cbranch_execz .LBB4_857
; %bb.856:                              ;   in Loop: Header=BB4_36 Depth=1
	ds_store_b32 v0, v1
	s_trap 2
.LBB4_857:                              ;   in Loop: Header=BB4_36 Depth=1
	s_or_b32 exec_lo, exec_lo, s19
	;;#ASMSTART
	s_wakeup
	;;#ASMEND
.LBB4_858:                              ;   in Loop: Header=BB4_36 Depth=1
	s_or_b32 exec_lo, exec_lo, s18
.LBB4_859:                              ;   in Loop: Header=BB4_36 Depth=1
	s_and_not1_saveexec_b32 s8, s8
	s_cbranch_execz .LBB4_861
; %bb.860:                              ;   in Loop: Header=BB4_36 Depth=1
	global_wb scope:SCOPE_DEV
	s_wait_storecnt 0x0
	s_wait_loadcnt_dscnt 0x0
	global_inv scope:SCOPE_DEV
	s_barrier_signal -1
	s_barrier_wait -1
.LBB4_861:                              ;   in Loop: Header=BB4_36 Depth=1
	s_or_b32 exec_lo, exec_lo, s8
	s_delay_alu instid0(SALU_CYCLE_1)
	s_or_b32 exec_lo, exec_lo, s7
	s_and_saveexec_b32 s7, s6
	s_cbranch_execz .LBB4_35
.LBB4_862:                              ;   in Loop: Header=BB4_36 Depth=1
	v_add_nc_u64_e32 v[38:39], 1, v[38:39]
	global_wb scope:SCOPE_SYS
	s_wait_storecnt 0x0
	s_wait_loadcnt_dscnt 0x0
	flat_store_b64 v[48:49], v[38:39] scope:SCOPE_SYS
	s_branch .LBB4_35
.LBB4_863:
	s_or_b32 exec_lo, exec_lo, s16
	s_delay_alu instid0(SALU_CYCLE_1)
	s_or_b32 exec_lo, exec_lo, s14
	s_and_saveexec_b32 s1, s9
	s_cbranch_execz .LBB4_20
.LBB4_864:
	s_wait_dscnt 0x0
	flat_store_b64 v[28:29], v[38:39] offset:104
	s_wait_xcnt 0x0
	s_or_b32 exec_lo, exec_lo, s1
	s_and_saveexec_b32 s1, s0
	s_cbranch_execnz .LBB4_21
	s_branch .LBB4_22
.LBB4_865:
	s_or_b32 exec_lo, exec_lo, s4
	s_and_saveexec_b32 s4, s5
	s_delay_alu instid0(SALU_CYCLE_1)
	s_xor_b32 s4, exec_lo, s4
	s_cbranch_execz .LBB4_867
; %bb.866:
	v_mov_b32_e32 v0, 1
	ds_store_b32 v0, v0
	s_trap 2
.LBB4_867:
	s_or_b32 exec_lo, exec_lo, s3
	;;#ASMSTART
	s_wakeup
	;;#ASMEND
.LBB4_868:
	s_or_b32 exec_lo, exec_lo, s2
.LBB4_869:
	s_and_not1_saveexec_b32 s1, s1
	s_cbranch_execz .LBB4_871
; %bb.870:
	global_wb scope:SCOPE_DEV
	s_wait_storecnt 0x0
	s_wait_loadcnt_dscnt 0x0
	global_inv scope:SCOPE_DEV
	s_barrier_signal -1
	s_barrier_wait -1
.LBB4_871:
	s_or_b32 exec_lo, exec_lo, s0
	s_clause 0x17
	scratch_load_b32 v79, off, s32
	scratch_load_b32 v78, off, s32 offset:4
	scratch_load_b32 v77, off, s32 offset:8
	;; [unrolled: 1-line block ×23, first 2 shown]
	s_wait_loadcnt_dscnt 0x0
	s_set_pc_i64 s[30:31]
.Lfunc_end4:
	.size	_ZN12_GLOBAL__N_17runRingI14__hip_fp8_e5m28FuncProdIS1_E7ProtoLLLi0ELi4ELi0EEEviiP15ncclDevWorkColl, .Lfunc_end4-_ZN12_GLOBAL__N_17runRingI14__hip_fp8_e5m28FuncProdIS1_E7ProtoLLLi0ELi4ELi0EEEviiP15ncclDevWorkColl
                                        ; -- End function
	.set .L_ZN12_GLOBAL__N_17runRingI14__hip_fp8_e5m28FuncProdIS1_E7ProtoLLLi0ELi4ELi0EEEviiP15ncclDevWorkColl.num_vgpr, 120
	.set .L_ZN12_GLOBAL__N_17runRingI14__hip_fp8_e5m28FuncProdIS1_E7ProtoLLLi0ELi4ELi0EEEviiP15ncclDevWorkColl.num_agpr, 0
	.set .L_ZN12_GLOBAL__N_17runRingI14__hip_fp8_e5m28FuncProdIS1_E7ProtoLLLi0ELi4ELi0EEEviiP15ncclDevWorkColl.numbered_sgpr, 41
	.set .L_ZN12_GLOBAL__N_17runRingI14__hip_fp8_e5m28FuncProdIS1_E7ProtoLLLi0ELi4ELi0EEEviiP15ncclDevWorkColl.num_named_barrier, 0
	.set .L_ZN12_GLOBAL__N_17runRingI14__hip_fp8_e5m28FuncProdIS1_E7ProtoLLLi0ELi4ELi0EEEviiP15ncclDevWorkColl.private_seg_size, 100
	.set .L_ZN12_GLOBAL__N_17runRingI14__hip_fp8_e5m28FuncProdIS1_E7ProtoLLLi0ELi4ELi0EEEviiP15ncclDevWorkColl.uses_vcc, 1
	.set .L_ZN12_GLOBAL__N_17runRingI14__hip_fp8_e5m28FuncProdIS1_E7ProtoLLLi0ELi4ELi0EEEviiP15ncclDevWorkColl.uses_flat_scratch, 1
	.set .L_ZN12_GLOBAL__N_17runRingI14__hip_fp8_e5m28FuncProdIS1_E7ProtoLLLi0ELi4ELi0EEEviiP15ncclDevWorkColl.has_dyn_sized_stack, 0
	.set .L_ZN12_GLOBAL__N_17runRingI14__hip_fp8_e5m28FuncProdIS1_E7ProtoLLLi0ELi4ELi0EEEviiP15ncclDevWorkColl.has_recursion, 0
	.set .L_ZN12_GLOBAL__N_17runRingI14__hip_fp8_e5m28FuncProdIS1_E7ProtoLLLi0ELi4ELi0EEEviiP15ncclDevWorkColl.has_indirect_call, 0
	.section	.AMDGPU.csdata,"",@progbits
; Function info:
; codeLenInByte = 25892
; TotalNumSgprs: 43
; NumVgprs: 120
; ScratchSize: 100
; MemoryBound: 0
	.text
	.p2align	2                               ; -- Begin function _Z51ncclDevFunc_ReduceScatter_RING_LL_Prod_f8e5m2_0_0_4v
	.type	_Z51ncclDevFunc_ReduceScatter_RING_LL_Prod_f8e5m2_0_0_4v,@function
_Z51ncclDevFunc_ReduceScatter_RING_LL_Prod_f8e5m2_0_0_4v: ; @_Z51ncclDevFunc_ReduceScatter_RING_LL_Prod_f8e5m2_0_0_4v
; %bb.0:
	s_wait_loadcnt_dscnt 0x0
	s_wait_kmcnt 0x0
	s_mov_b32 s56, s33
	s_mov_b32 s33, s32
	s_or_saveexec_b32 s0, -1
	scratch_store_b32 off, v41, s33 offset:4 ; 4-byte Folded Spill
	s_wait_xcnt 0x0
	s_mov_b32 exec_lo, s0
	s_add_co_i32 s32, s32, 16
	scratch_store_b32 off, v40, s33         ; 4-byte Folded Spill
	v_writelane_b32 v41, s30, 0
	v_writelane_b32 v41, s31, 1
	s_trap 2
	ds_load_b32 v0, v0
	s_wait_dscnt 0x0
	v_cmp_gt_i32_e32 vcc_lo, 1, v0
	s_cbranch_vccnz .LBB5_8
; %bb.1:
	s_wait_xcnt 0x0
	v_and_b32_e32 v40, 0x3ff, v31
	s_mov_b32 s41, s12
	s_mov_b64 s[42:43], s[8:9]
	s_mov_b32 s46, 0
	s_get_pc_i64 s[44:45]
	s_add_nc_u64 s[44:45], s[44:45], _ZN12_GLOBAL__N_17runRingI14__hip_fp8_e5m28FuncProdIS1_E7ProtoLLLi0ELi4ELi0EEEviiP15ncclDevWorkColl@rel64+4
	s_branch .LBB5_3
.LBB5_2:                                ;   in Loop: Header=BB5_3 Depth=1
	s_or_b32 exec_lo, exec_lo, s47
	s_trap 2
	ds_load_b32 v0, v0
	s_add_co_i32 s46, s46, 1
	s_wait_dscnt 0x0
	v_cmp_lt_i32_e32 vcc_lo, s46, v0
	s_cbranch_vccz .LBB5_8
.LBB5_3:                                ; =>This Inner Loop Header: Depth=1
	s_trap 2
	ds_load_b32 v0, v0
	s_cmp_eq_u32 s46, 0
	s_cbranch_scc1 .LBB5_6
; %bb.4:                                ;   in Loop: Header=BB5_3 Depth=1
	s_trap 2
	s_wait_dscnt 0x0
	ds_load_b32 v1, v0
	s_wait_dscnt 0x0
	v_xor_b32_e32 v1, v1, v0
	s_delay_alu instid0(VALU_DEP_1) | instskip(NEXT) | instid1(VALU_DEP_1)
	v_and_b32_e32 v1, 0xff0000, v1
	v_cmp_eq_u32_e32 vcc_lo, 0, v1
	s_cbranch_vccnz .LBB5_6
; %bb.5:                                ;   in Loop: Header=BB5_3 Depth=1
	s_wait_storecnt 0x0
	s_barrier_signal -1
	s_barrier_wait -1
	ds_load_b32 v0, v0
.LBB5_6:                                ;   in Loop: Header=BB5_3 Depth=1
	s_wait_dscnt 0x0
	v_lshrrev_b32_e32 v0, 11, v0
	s_mov_b32 s47, exec_lo
	s_delay_alu instid0(VALU_DEP_1) | instskip(NEXT) | instid1(VALU_DEP_1)
	v_and_b32_e32 v1, 0x1fe0, v0
	v_cmpx_lt_u32_e64 v40, v1
	s_cbranch_execz .LBB5_2
; %bb.7:                                ;   in Loop: Header=BB5_3 Depth=1
	s_mov_b64 s[0:1], src_shared_base
	s_delay_alu instid0(SALU_CYCLE_1)
	v_dual_mov_b32 v0, v40 :: v_dual_mov_b32 v3, s1
	s_mov_b64 s[8:9], s[42:43]
	s_mov_b32 s12, s41
	s_swap_pc_i64 s[30:31], s[44:45]
	s_branch .LBB5_2
.LBB5_8:
	scratch_load_b32 v40, off, s33          ; 4-byte Folded Reload
	v_readlane_b32 s30, v41, 0
	v_readlane_b32 s31, v41, 1
	s_mov_b32 s32, s33
	s_wait_xcnt 0x0
	s_or_saveexec_b32 s0, -1
	scratch_load_b32 v41, off, s33 offset:4 ; 4-byte Folded Reload
	s_wait_xcnt 0x0
	s_mov_b32 exec_lo, s0
	s_mov_b32 s33, s56
	s_wait_loadcnt 0x0
	s_set_pc_i64 s[30:31]
.Lfunc_end5:
	.size	_Z51ncclDevFunc_ReduceScatter_RING_LL_Prod_f8e5m2_0_0_4v, .Lfunc_end5-_Z51ncclDevFunc_ReduceScatter_RING_LL_Prod_f8e5m2_0_0_4v
                                        ; -- End function
	.set .L_Z51ncclDevFunc_ReduceScatter_RING_LL_Prod_f8e5m2_0_0_4v.num_vgpr, max(42, .L_ZN12_GLOBAL__N_17runRingI14__hip_fp8_e5m28FuncProdIS1_E7ProtoLLLi0ELi4ELi0EEEviiP15ncclDevWorkColl.num_vgpr)
	.set .L_Z51ncclDevFunc_ReduceScatter_RING_LL_Prod_f8e5m2_0_0_4v.num_agpr, max(0, .L_ZN12_GLOBAL__N_17runRingI14__hip_fp8_e5m28FuncProdIS1_E7ProtoLLLi0ELi4ELi0EEEviiP15ncclDevWorkColl.num_agpr)
	.set .L_Z51ncclDevFunc_ReduceScatter_RING_LL_Prod_f8e5m2_0_0_4v.numbered_sgpr, max(57, .L_ZN12_GLOBAL__N_17runRingI14__hip_fp8_e5m28FuncProdIS1_E7ProtoLLLi0ELi4ELi0EEEviiP15ncclDevWorkColl.numbered_sgpr)
	.set .L_Z51ncclDevFunc_ReduceScatter_RING_LL_Prod_f8e5m2_0_0_4v.num_named_barrier, max(0, .L_ZN12_GLOBAL__N_17runRingI14__hip_fp8_e5m28FuncProdIS1_E7ProtoLLLi0ELi4ELi0EEEviiP15ncclDevWorkColl.num_named_barrier)
	.set .L_Z51ncclDevFunc_ReduceScatter_RING_LL_Prod_f8e5m2_0_0_4v.private_seg_size, 16+max(.L_ZN12_GLOBAL__N_17runRingI14__hip_fp8_e5m28FuncProdIS1_E7ProtoLLLi0ELi4ELi0EEEviiP15ncclDevWorkColl.private_seg_size)
	.set .L_Z51ncclDevFunc_ReduceScatter_RING_LL_Prod_f8e5m2_0_0_4v.uses_vcc, or(1, .L_ZN12_GLOBAL__N_17runRingI14__hip_fp8_e5m28FuncProdIS1_E7ProtoLLLi0ELi4ELi0EEEviiP15ncclDevWorkColl.uses_vcc)
	.set .L_Z51ncclDevFunc_ReduceScatter_RING_LL_Prod_f8e5m2_0_0_4v.uses_flat_scratch, or(0, .L_ZN12_GLOBAL__N_17runRingI14__hip_fp8_e5m28FuncProdIS1_E7ProtoLLLi0ELi4ELi0EEEviiP15ncclDevWorkColl.uses_flat_scratch)
	.set .L_Z51ncclDevFunc_ReduceScatter_RING_LL_Prod_f8e5m2_0_0_4v.has_dyn_sized_stack, or(0, .L_ZN12_GLOBAL__N_17runRingI14__hip_fp8_e5m28FuncProdIS1_E7ProtoLLLi0ELi4ELi0EEEviiP15ncclDevWorkColl.has_dyn_sized_stack)
	.set .L_Z51ncclDevFunc_ReduceScatter_RING_LL_Prod_f8e5m2_0_0_4v.has_recursion, or(1, .L_ZN12_GLOBAL__N_17runRingI14__hip_fp8_e5m28FuncProdIS1_E7ProtoLLLi0ELi4ELi0EEEviiP15ncclDevWorkColl.has_recursion)
	.set .L_Z51ncclDevFunc_ReduceScatter_RING_LL_Prod_f8e5m2_0_0_4v.has_indirect_call, or(0, .L_ZN12_GLOBAL__N_17runRingI14__hip_fp8_e5m28FuncProdIS1_E7ProtoLLLi0ELi4ELi0EEEviiP15ncclDevWorkColl.has_indirect_call)
	.section	.AMDGPU.csdata,"",@progbits
; Function info:
; codeLenInByte = 396
; TotalNumSgprs: 59
; NumVgprs: 120
; ScratchSize: 116
; MemoryBound: 0
	.text
	.p2alignl 7, 3214868480
	.fill 96, 4, 3214868480
	.section	.AMDGPU.gpr_maximums,"",@progbits
	.set amdgpu.max_num_vgpr, 120
	.set amdgpu.max_num_agpr, 0
	.set amdgpu.max_num_sgpr, 57
	.text
	.type	__hip_cuid_69710831c1bf0fe1,@object ; @__hip_cuid_69710831c1bf0fe1
	.section	.bss,"aw",@nobits
	.globl	__hip_cuid_69710831c1bf0fe1
__hip_cuid_69710831c1bf0fe1:
	.byte	0                               ; 0x0
	.size	__hip_cuid_69710831c1bf0fe1, 1

	.ident	"AMD clang version 22.0.0git (https://github.com/RadeonOpenCompute/llvm-project roc-7.2.4 26084 f58b06dce1f9c15707c5f808fd002e18c2accf7e)"
	.section	".note.GNU-stack","",@progbits
	.addrsig
	.addrsig_sym _Z51ncclDevFunc_ReduceScatter_RING_LL_Prod_f8e5m2_0_0_1v
	.addrsig_sym _Z51ncclDevFunc_ReduceScatter_RING_LL_Prod_f8e5m2_0_0_2v
	.addrsig_sym _Z51ncclDevFunc_ReduceScatter_RING_LL_Prod_f8e5m2_0_0_4v
	.addrsig_sym ncclShmem
	.addrsig_sym __hip_cuid_69710831c1bf0fe1
	.amdgpu_metadata
---
amdhsa.kernels:  []
amdhsa.target:   amdgcn-amd-amdhsa--gfx1250
amdhsa.version:
  - 1
  - 2
...

	.end_amdgpu_metadata
